;; amdgpu-corpus repo=ROCm/rocFFT kind=compiled arch=gfx1100 opt=O3
	.text
	.amdgcn_target "amdgcn-amd-amdhsa--gfx1100"
	.amdhsa_code_object_version 6
	.protected	bluestein_single_fwd_len1287_dim1_dp_op_CI_CI ; -- Begin function bluestein_single_fwd_len1287_dim1_dp_op_CI_CI
	.globl	bluestein_single_fwd_len1287_dim1_dp_op_CI_CI
	.p2align	8
	.type	bluestein_single_fwd_len1287_dim1_dp_op_CI_CI,@function
bluestein_single_fwd_len1287_dim1_dp_op_CI_CI: ; @bluestein_single_fwd_len1287_dim1_dp_op_CI_CI
; %bb.0:
	s_load_b128 s[8:11], s[0:1], 0x28
	v_mul_u32_u24_e32 v1, 0x231, v0
	s_mov_b32 s2, exec_lo
	v_mov_b32_e32 v7, 0
	s_delay_alu instid0(VALU_DEP_2) | instskip(NEXT) | instid1(VALU_DEP_1)
	v_lshrrev_b32_e32 v1, 16, v1
	v_add_nc_u32_e32 v6, s15, v1
	s_waitcnt lgkmcnt(0)
	s_delay_alu instid0(VALU_DEP_1)
	v_cmpx_gt_u64_e64 s[8:9], v[6:7]
	s_cbranch_execz .LBB0_31
; %bb.1:
	s_clause 0x1
	s_load_b128 s[4:7], s[0:1], 0x18
	s_load_b64 s[2:3], s[0:1], 0x0
	v_mul_lo_u16 v1, 0x75, v1
	v_mov_b32_e32 v4, v6
	s_delay_alu instid0(VALU_DEP_2) | instskip(NEXT) | instid1(VALU_DEP_1)
	v_sub_nc_u16 v75, v0, v1
	v_and_b32_e32 v182, 0xffff, v75
	s_delay_alu instid0(VALU_DEP_1)
	v_lshlrev_b32_e32 v255, 4, v182
	s_waitcnt lgkmcnt(0)
	s_load_b128 s[12:15], s[4:5], 0x0
	s_clause 0x2
	global_load_b128 v[76:79], v255, s[2:3]
	global_load_b128 v[80:83], v255, s[2:3] offset:1872
	global_load_b128 v[84:87], v255, s[2:3] offset:3744
	v_add_co_u32 v210, s4, s2, v255
	s_delay_alu instid0(VALU_DEP_1) | instskip(NEXT) | instid1(VALU_DEP_2)
	v_add_co_ci_u32_e64 v16, null, s3, 0, s4
	v_add_co_u32 v10, vcc_lo, 0x1000, v210
	s_delay_alu instid0(VALU_DEP_2)
	v_add_co_ci_u32_e32 v11, vcc_lo, 0, v16, vcc_lo
	scratch_store_b64 off, v[4:5], off      ; 8-byte Folded Spill
	v_add_co_u32 v8, vcc_lo, 0x3000, v210
	scratch_store_b64 off, v[10:11], off offset:64 ; 8-byte Folded Spill
	v_add_co_ci_u32_e32 v9, vcc_lo, 0, v16, vcc_lo
	v_add_co_u32 v14, vcc_lo, 0x2000, v210
	s_waitcnt lgkmcnt(0)
	v_mad_u64_u32 v[0:1], null, s14, v6, 0
	v_mad_u64_u32 v[2:3], null, s12, v182, 0
	v_add_co_ci_u32_e32 v15, vcc_lo, 0, v16, vcc_lo
	v_add_co_u32 v37, vcc_lo, 0x4000, v210
	v_add_co_ci_u32_e32 v38, vcc_lo, 0, v16, vcc_lo
	s_delay_alu instid0(VALU_DEP_4)
	v_mad_u64_u32 v[4:5], null, s15, v6, v[1:2]
	s_mul_i32 s3, s13, 0x1ad
	s_mul_hi_u32 s5, s12, 0x1ad
	s_mul_i32 s2, s12, 0x1ad
	s_add_i32 s3, s5, s3
	s_mul_hi_u32 s9, s12, 0xfffffd1b
	s_mul_i32 s8, s13, 0xfffffd1b
	s_delay_alu instid0(VALU_DEP_1)
	v_mov_b32_e32 v1, v4
	v_mad_u64_u32 v[5:6], null, s13, v182, v[3:4]
	s_sub_i32 s5, s9, s12
	s_clause 0x2
	global_load_b128 v[96:99], v[10:11], off offset:2768
	global_load_b128 v[92:95], v[8:9], off offset:1440
	;; [unrolled: 1-line block ×3, first 2 shown]
	v_lshlrev_b64 v[0:1], 4, v[0:1]
	s_mul_i32 s4, s12, 0xfffffd1b
	s_add_i32 s5, s5, s8
	scratch_store_b64 off, v[8:9], off offset:32 ; 8-byte Folded Spill
	v_mov_b32_e32 v3, v5
	global_load_b128 v[100:103], v[8:9], off offset:3312
	v_add_co_u32 v0, vcc_lo, s10, v0
	v_add_co_ci_u32_e32 v1, vcc_lo, s11, v1, vcc_lo
	v_lshlrev_b64 v[2:3], 4, v[2:3]
	s_lshl_b64 s[10:11], s[2:3], 4
	s_lshl_b64 s[2:3], s[4:5], 4
	s_delay_alu instid0(VALU_DEP_1) | instskip(NEXT) | instid1(VALU_DEP_2)
	v_add_co_u32 v0, vcc_lo, v0, v2
	v_add_co_ci_u32_e32 v1, vcc_lo, v1, v3, vcc_lo
	s_delay_alu instid0(VALU_DEP_2) | instskip(NEXT) | instid1(VALU_DEP_2)
	v_add_co_u32 v6, vcc_lo, v0, s10
	v_add_co_ci_u32_e32 v7, vcc_lo, s11, v1, vcc_lo
	s_delay_alu instid0(VALU_DEP_2) | instskip(NEXT) | instid1(VALU_DEP_2)
	v_add_co_u32 v10, vcc_lo, v6, s10
	v_add_co_ci_u32_e32 v11, vcc_lo, s11, v7, vcc_lo
	s_clause 0x1
	global_load_b128 v[2:5], v[0:1], off
	global_load_b128 v[6:9], v[6:7], off
	v_add_co_u32 v17, vcc_lo, v10, s2
	v_add_co_ci_u32_e32 v18, vcc_lo, s3, v11, vcc_lo
	s_delay_alu instid0(VALU_DEP_2) | instskip(NEXT) | instid1(VALU_DEP_2)
	v_add_co_u32 v21, vcc_lo, v17, s10
	v_add_co_ci_u32_e32 v22, vcc_lo, s11, v18, vcc_lo
	s_clause 0x1
	global_load_b128 v[10:13], v[10:11], off
	global_load_b128 v[17:20], v[17:18], off
	v_add_co_u32 v0, vcc_lo, v21, s10
	v_add_co_ci_u32_e32 v1, vcc_lo, s11, v22, vcc_lo
	global_load_b128 v[21:24], v[21:22], off
	v_add_co_u32 v29, vcc_lo, v0, s2
	v_add_co_ci_u32_e32 v30, vcc_lo, s3, v1, vcc_lo
	;; [unrolled: 3-line block ×3, first 2 shown]
	s_delay_alu instid0(VALU_DEP_2) | instskip(NEXT) | instid1(VALU_DEP_2)
	v_add_co_u32 v0, vcc_lo, v33, s10
	v_add_co_ci_u32_e32 v1, vcc_lo, s11, v34, vcc_lo
	global_load_b128 v[29:32], v[29:30], off
	global_load_b128 v[104:107], v[14:15], off offset:2416
	global_load_b128 v[33:36], v[33:34], off
	scratch_store_b64 off, v[37:38], off offset:56 ; 8-byte Folded Spill
	global_load_b128 v[108:111], v[37:38], off offset:1088
	global_load_b128 v[37:40], v[0:1], off
	v_cmp_gt_u16_e32 vcc_lo, 0x4e, v75
	s_waitcnt vmcnt(17)
	scratch_store_b128 off, v[76:79], off offset:16 ; 16-byte Folded Spill
	s_waitcnt vmcnt(16)
	scratch_store_b128 off, v[80:83], off offset:40 ; 16-byte Folded Spill
	;; [unrolled: 2-line block ×7, first 2 shown]
	s_waitcnt vmcnt(10)
	v_mul_f64 v[14:15], v[4:5], v[78:79]
	v_mul_f64 v[41:42], v[2:3], v[78:79]
	s_waitcnt vmcnt(9)
	v_mul_f64 v[43:44], v[8:9], v[98:99]
	v_mul_f64 v[45:46], v[6:7], v[98:99]
	s_waitcnt vmcnt(8)
	v_mul_f64 v[47:48], v[12:13], v[94:95]
	s_waitcnt vmcnt(7)
	v_mul_f64 v[51:52], v[19:20], v[82:83]
	v_mul_f64 v[53:54], v[17:18], v[82:83]
	;; [unrolled: 1-line block ×3, first 2 shown]
	s_waitcnt vmcnt(6)
	v_mul_f64 v[55:56], v[23:24], v[90:91]
	v_mul_f64 v[57:58], v[21:22], v[90:91]
	s_waitcnt vmcnt(5)
	v_mul_f64 v[59:60], v[27:28], v[102:103]
	v_mul_f64 v[61:62], v[25:26], v[102:103]
	s_waitcnt vmcnt(4)
	v_mul_f64 v[63:64], v[31:32], v[86:87]
	s_waitcnt vmcnt(3)
	scratch_store_b128 off, v[104:107], off offset:152 ; 16-byte Folded Spill
	v_mul_f64 v[65:66], v[29:30], v[86:87]
	s_waitcnt vmcnt(2)
	v_mul_f64 v[67:68], v[35:36], v[106:107]
	v_mul_f64 v[69:70], v[33:34], v[106:107]
	s_waitcnt vmcnt(0)
	v_mul_f64 v[71:72], v[39:40], v[110:111]
	v_mul_f64 v[73:74], v[37:38], v[110:111]
	scratch_store_b128 off, v[108:111], off offset:168 ; 16-byte Folded Spill
	s_load_b64 s[8:9], s[0:1], 0x38
	s_load_b128 s[4:7], s[6:7], 0x0
	v_fma_f64 v[2:3], v[2:3], v[76:77], v[14:15]
	v_fma_f64 v[4:5], v[4:5], v[76:77], -v[41:42]
	v_fma_f64 v[6:7], v[6:7], v[96:97], v[43:44]
	v_fma_f64 v[8:9], v[8:9], v[96:97], -v[45:46]
	v_fma_f64 v[10:11], v[10:11], v[92:93], v[47:48]
	v_fma_f64 v[17:18], v[17:18], v[80:81], v[51:52]
	v_fma_f64 v[19:20], v[19:20], v[80:81], -v[53:54]
	v_fma_f64 v[12:13], v[12:13], v[92:93], -v[49:50]
	v_fma_f64 v[21:22], v[21:22], v[88:89], v[55:56]
	v_fma_f64 v[23:24], v[23:24], v[88:89], -v[57:58]
	v_fma_f64 v[25:26], v[25:26], v[100:101], v[59:60]
	v_fma_f64 v[27:28], v[27:28], v[100:101], -v[61:62]
	ds_store_b128 v255, v[2:5]
	ds_store_b128 v255, v[17:20] offset:1872
	ds_store_b128 v255, v[10:13] offset:13728
	;; [unrolled: 1-line block ×3, first 2 shown]
	v_fma_f64 v[29:30], v[29:30], v[84:85], v[63:64]
	v_fma_f64 v[31:32], v[31:32], v[84:85], -v[65:66]
	v_fma_f64 v[33:34], v[33:34], v[104:105], v[67:68]
	v_fma_f64 v[35:36], v[35:36], v[104:105], -v[69:70]
	;; [unrolled: 2-line block ×3, first 2 shown]
	ds_store_b128 v255, v[6:9] offset:6864
	ds_store_b128 v255, v[29:32] offset:3744
	;; [unrolled: 1-line block ×5, first 2 shown]
	s_and_saveexec_b32 s12, vcc_lo
	s_cbranch_execz .LBB0_3
; %bb.2:
	scratch_load_b64 v[4:5], off, off offset:64 ; 8-byte Folded Reload
	v_add_co_u32 v0, s2, v0, s2
	s_delay_alu instid0(VALU_DEP_1) | instskip(NEXT) | instid1(VALU_DEP_2)
	v_add_co_ci_u32_e64 v1, s2, s3, v1, s2
	v_add_co_u32 v8, s2, v0, s10
	s_delay_alu instid0(VALU_DEP_1) | instskip(SKIP_2) | instid1(VALU_DEP_1)
	v_add_co_ci_u32_e64 v9, s2, s11, v1, s2
	global_load_b128 v[0:3], v[0:1], off
	v_add_co_u32 v21, s2, v8, s10
	v_add_co_ci_u32_e64 v22, s2, s11, v9, s2
	s_waitcnt vmcnt(1)
	global_load_b128 v[4:7], v[4:5], off offset:1520
	global_load_b128 v[8:11], v[8:9], off
	scratch_load_b64 v[12:13], off, off offset:32 ; 8-byte Folded Reload
	s_waitcnt vmcnt(0)
	global_load_b128 v[12:15], v[12:13], off offset:192
	scratch_load_b64 v[17:18], off, off offset:56 ; 8-byte Folded Reload
	v_mul_f64 v[25:26], v[2:3], v[6:7]
	v_mul_f64 v[6:7], v[0:1], v[6:7]
	s_waitcnt vmcnt(0)
	global_load_b128 v[17:20], v[17:18], off offset:2960
	global_load_b128 v[21:24], v[21:22], off
	v_mul_f64 v[27:28], v[10:11], v[14:15]
	v_mul_f64 v[14:15], v[8:9], v[14:15]
	v_fma_f64 v[0:1], v[0:1], v[4:5], v[25:26]
	v_fma_f64 v[2:3], v[2:3], v[4:5], -v[6:7]
	s_delay_alu instid0(VALU_DEP_4) | instskip(NEXT) | instid1(VALU_DEP_4)
	v_fma_f64 v[4:5], v[8:9], v[12:13], v[27:28]
	v_fma_f64 v[6:7], v[10:11], v[12:13], -v[14:15]
	s_waitcnt vmcnt(0)
	v_mul_f64 v[29:30], v[23:24], v[19:20]
	v_mul_f64 v[19:20], v[21:22], v[19:20]
	s_delay_alu instid0(VALU_DEP_2) | instskip(NEXT) | instid1(VALU_DEP_2)
	v_fma_f64 v[8:9], v[21:22], v[17:18], v[29:30]
	v_fma_f64 v[10:11], v[23:24], v[17:18], -v[19:20]
	ds_store_b128 v255, v[0:3] offset:5616
	ds_store_b128 v255, v[4:7] offset:12480
	;; [unrolled: 1-line block ×3, first 2 shown]
.LBB0_3:
	s_or_b32 exec_lo, exec_lo, s12
	s_waitcnt lgkmcnt(0)
	s_waitcnt_vscnt null, 0x0
	s_barrier
	buffer_gl0_inv
	ds_load_b128 v[52:55], v255
	ds_load_b128 v[48:51], v255 offset:1872
	ds_load_b128 v[36:39], v255 offset:13728
	;; [unrolled: 1-line block ×8, first 2 shown]
                                        ; implicit-def: $vgpr60_vgpr61
                                        ; implicit-def: $vgpr76_vgpr77
                                        ; implicit-def: $vgpr84_vgpr85
	s_and_saveexec_b32 s2, vcc_lo
	s_cbranch_execz .LBB0_5
; %bb.4:
	ds_load_b128 v[60:63], v255 offset:5616
	ds_load_b128 v[76:79], v255 offset:12480
	;; [unrolled: 1-line block ×3, first 2 shown]
.LBB0_5:
	s_or_b32 exec_lo, exec_lo, s2
	s_waitcnt lgkmcnt(4)
	v_add_f64 v[0:1], v[72:73], v[36:37]
	v_add_f64 v[2:3], v[74:75], v[38:39]
	s_waitcnt lgkmcnt(2)
	v_add_f64 v[4:5], v[68:69], v[40:41]
	v_add_f64 v[6:7], v[70:71], v[42:43]
	s_waitcnt lgkmcnt(0)
	v_add_f64 v[8:9], v[64:65], v[44:45]
	v_add_f64 v[10:11], v[66:67], v[46:47]
	v_add_f64 v[12:13], v[76:77], v[84:85]
	v_add_f64 v[14:15], v[78:79], v[86:87]
	v_add_f64 v[17:18], v[52:53], v[72:73]
	v_add_f64 v[19:20], v[74:75], -v[38:39]
	v_add_f64 v[21:22], v[54:55], v[74:75]
	v_add_f64 v[23:24], v[48:49], v[68:69]
	;; [unrolled: 1-line block ×7, first 2 shown]
	v_add_f64 v[72:73], v[72:73], -v[36:37]
	v_add_f64 v[70:71], v[70:71], -v[42:43]
	;; [unrolled: 1-line block ×7, first 2 shown]
	s_mov_b32 s2, 0xe8584caa
	s_mov_b32 s3, 0x3febb67a
	;; [unrolled: 1-line block ×4, first 2 shown]
	v_add_co_u32 v106, null, 0x15f, v182
	s_barrier
	buffer_gl0_inv
	v_fma_f64 v[0:1], v[0:1], -0.5, v[52:53]
	v_fma_f64 v[2:3], v[2:3], -0.5, v[54:55]
	;; [unrolled: 1-line block ×8, first 2 shown]
	v_add_f64 v[76:77], v[17:18], v[36:37]
	v_add_f64 v[78:79], v[21:22], v[38:39]
	;; [unrolled: 1-line block ×8, first 2 shown]
	v_fma_f64 v[52:53], v[19:20], s[2:3], v[0:1]
	v_fma_f64 v[40:41], v[19:20], s[10:11], v[0:1]
	;; [unrolled: 1-line block ×16, first 2 shown]
	s_load_b64 s[2:3], s[0:1], 0x8
	v_add_co_u32 v17, s0, 0x75, v182
	s_delay_alu instid0(VALU_DEP_1) | instskip(SKIP_2) | instid1(VALU_DEP_1)
	v_add_co_ci_u32_e64 v0, null, 0, 0, s0
	v_mul_lo_u16 v0, v182, 3
	v_add_co_u32 v107, s0, 0xea, v182
	v_add_co_ci_u32_e64 v1, null, 0, 0, s0
	s_delay_alu instid0(VALU_DEP_3) | instskip(SKIP_1) | instid1(VALU_DEP_4)
	v_and_b32_e32 v0, 0xffff, v0
	v_mul_u32_u24_e32 v1, 3, v17
	v_mul_u32_u24_e32 v2, 3, v107
	s_delay_alu instid0(VALU_DEP_3) | instskip(SKIP_1) | instid1(VALU_DEP_4)
	v_lshlrev_b32_e32 v3, 4, v0
	v_mul_u32_u24_e32 v0, 3, v106
	v_lshlrev_b32_e32 v1, 4, v1
	scratch_store_b32 off, v0, off offset:312 ; 4-byte Folded Spill
	v_lshlrev_b32_e32 v0, 4, v2
	ds_store_b128 v3, v[76:79]
	ds_store_b128 v3, v[52:55] offset:16
	scratch_store_b32 off, v3, off offset:232 ; 4-byte Folded Spill
	ds_store_b128 v3, v[40:43] offset:32
	ds_store_b128 v1, v[56:59]
	ds_store_b128 v1, v[44:47] offset:16
	scratch_store_b32 off, v1, off offset:240 ; 4-byte Folded Spill
	ds_store_b128 v1, v[68:71] offset:32
	;; [unrolled: 4-line block ×3, first 2 shown]
	s_and_saveexec_b32 s0, vcc_lo
	s_cbranch_execz .LBB0_7
; %bb.6:
	v_mul_u32_u24_e32 v0, 3, v106
	s_delay_alu instid0(VALU_DEP_1)
	v_lshlrev_b32_e32 v0, 4, v0
	ds_store_b128 v0, v[48:51]
	ds_store_b128 v0, v[84:87] offset:16
	ds_store_b128 v0, v[60:63] offset:32
.LBB0_7:
	s_or_b32 exec_lo, exec_lo, s0
	v_cmp_gt_u16_e64 s0, 0x63, v182
	s_waitcnt lgkmcnt(0)
	s_waitcnt_vscnt null, 0x0
	s_barrier
	buffer_gl0_inv
                                        ; implicit-def: $vgpr100_vgpr101
	s_and_saveexec_b32 s1, s0
	s_cbranch_execz .LBB0_9
; %bb.8:
	ds_load_b128 v[76:79], v255
	ds_load_b128 v[52:55], v255 offset:1584
	ds_load_b128 v[40:43], v255 offset:3168
	ds_load_b128 v[56:59], v255 offset:4752
	ds_load_b128 v[44:47], v255 offset:6336
	ds_load_b128 v[68:71], v255 offset:7920
	ds_load_b128 v[80:83], v255 offset:9504
	ds_load_b128 v[92:95], v255 offset:11088
	ds_load_b128 v[96:99], v255 offset:12672
	ds_load_b128 v[48:51], v255 offset:14256
	ds_load_b128 v[84:87], v255 offset:15840
	ds_load_b128 v[60:63], v255 offset:17424
	ds_load_b128 v[100:103], v255 offset:19008
.LBB0_9:
	s_or_b32 exec_lo, exec_lo, s1
	v_and_b32_e32 v114, 0xff, v182
	s_mov_b32 s14, 0x4267c47c
	s_mov_b32 s15, 0xbfddbe06
	;; [unrolled: 1-line block ×4, first 2 shown]
	v_mul_lo_u16 v0, 0xab, v114
	s_mov_b32 s13, 0x3fec55a7
	s_mov_b32 s17, 0xbfea55e2
	;; [unrolled: 1-line block ×4, first 2 shown]
	v_lshrrev_b16 v168, 9, v0
	s_mov_b32 s20, 0x66966769
	s_mov_b32 s21, 0xbfefc445
	;; [unrolled: 1-line block ×4, first 2 shown]
	v_mul_lo_u16 v0, v168, 3
	s_mov_b32 s26, 0x2ef20147
	s_mov_b32 s27, 0xbfedeba7
	;; [unrolled: 1-line block ×4, first 2 shown]
	v_sub_nc_u16 v0, v182, v0
	s_mov_b32 s46, 0x24c2f84
	s_mov_b32 s47, 0x3fe5384d
	;; [unrolled: 1-line block ×4, first 2 shown]
	v_and_b32_e32 v0, 0xff, v0
	s_mov_b32 s24, 0xd0032e0c
	s_mov_b32 s25, 0xbfe7f3cc
	;; [unrolled: 1-line block ×4, first 2 shown]
	scratch_store_b32 off, v0, off offset:184 ; 4-byte Folded Spill
	v_mul_u32_u24_e32 v0, 12, v0
	s_mov_b32 s28, 0x93053d00
	s_mov_b32 s29, 0xbfef11f4
	;; [unrolled: 1-line block ×4, first 2 shown]
	v_lshlrev_b32_e32 v2, 4, v0
	s_mov_b32 s35, 0x3fddbe06
	s_mov_b32 s34, s14
	;; [unrolled: 1-line block ×3, first 2 shown]
	s_clause 0x1
	global_load_b128 v[3:6], v2, s[2:3]
	global_load_b128 v[64:67], v2, s[2:3] offset:16
	s_mov_b32 s38, s26
	s_mov_b32 s45, 0x3fcea1e5
	;; [unrolled: 1-line block ×5, first 2 shown]
	s_waitcnt vmcnt(1)
	scratch_store_b128 off, v[3:6], off offset:192 ; 16-byte Folded Spill
	s_clause 0x1
	global_load_b128 v[88:91], v2, s[2:3] offset:176
	global_load_b128 v[72:75], v2, s[2:3] offset:160
	s_waitcnt lgkmcnt(11)
	v_mul_f64 v[0:1], v[54:55], v[5:6]
	s_delay_alu instid0(VALU_DEP_1) | instskip(SKIP_1) | instid1(VALU_DEP_1)
	v_fma_f64 v[174:175], v[52:53], v[3:4], -v[0:1]
	v_mul_f64 v[0:1], v[52:53], v[5:6]
	v_fma_f64 v[176:177], v[54:55], v[3:4], v[0:1]
	s_clause 0x1
	global_load_b128 v[52:55], v2, s[2:3] offset:32
	global_load_b128 v[3:6], v2, s[2:3] offset:48
	s_waitcnt vmcnt(3) lgkmcnt(0)
	v_mul_f64 v[0:1], v[100:101], v[90:91]
	s_delay_alu instid0(VALU_DEP_1) | instskip(SKIP_1) | instid1(VALU_DEP_2)
	v_fma_f64 v[112:113], v[102:103], v[88:89], v[0:1]
	v_mul_f64 v[0:1], v[102:103], v[90:91]
	v_add_f64 v[22:23], v[176:177], -v[112:113]
	s_delay_alu instid0(VALU_DEP_2) | instskip(SKIP_2) | instid1(VALU_DEP_4)
	v_fma_f64 v[11:12], v[100:101], v[88:89], -v[0:1]
	v_mul_f64 v[0:1], v[42:43], v[66:67]
	v_add_f64 v[24:25], v[176:177], v[112:113]
	v_mul_f64 v[20:21], v[22:23], s[14:15]
	s_delay_alu instid0(VALU_DEP_4) | instskip(NEXT) | instid1(VALU_DEP_4)
	v_add_f64 v[253:254], v[174:175], v[11:12]
	v_fma_f64 v[102:103], v[40:41], v[64:65], -v[0:1]
	v_mul_f64 v[0:1], v[40:41], v[66:67]
	v_add_f64 v[28:29], v[174:175], -v[11:12]
	v_mul_f64 v[30:31], v[22:23], s[16:17]
	v_and_b32_e32 v40, 0xffff, v168
	v_mul_f64 v[150:151], v[22:23], s[26:27]
	v_fma_f64 v[108:109], v[42:43], v[64:65], v[0:1]
	s_waitcnt vmcnt(2)
	v_mul_f64 v[0:1], v[60:61], v[74:75]
	v_mul_f64 v[26:27], v[28:29], s[14:15]
	;; [unrolled: 1-line block ×5, first 2 shown]
	v_fma_f64 v[7:8], v[62:63], v[72:73], v[0:1]
	v_mul_f64 v[0:1], v[62:63], v[74:75]
	s_delay_alu instid0(VALU_DEP_2) | instskip(NEXT) | instid1(VALU_DEP_2)
	v_add_f64 v[160:161], v[108:109], -v[7:8]
	v_fma_f64 v[9:10], v[60:61], v[72:73], -v[0:1]
	s_waitcnt vmcnt(1)
	v_mul_f64 v[0:1], v[58:59], v[54:55]
	v_add_f64 v[148:149], v[108:109], v[7:8]
	s_delay_alu instid0(VALU_DEP_4) | instskip(NEXT) | instid1(VALU_DEP_4)
	v_mul_f64 v[186:187], v[160:161], s[16:17]
	v_add_f64 v[144:145], v[102:103], v[9:10]
	s_delay_alu instid0(VALU_DEP_4) | instskip(SKIP_4) | instid1(VALU_DEP_4)
	v_fma_f64 v[110:111], v[56:57], v[52:53], -v[0:1]
	v_mul_f64 v[0:1], v[56:57], v[54:55]
	v_add_f64 v[162:163], v[102:103], -v[9:10]
	v_mul_f64 v[38:39], v[160:161], s[30:31]
	v_mul_f64 v[229:230], v[160:161], s[46:47]
	v_fma_f64 v[172:173], v[58:59], v[52:53], v[0:1]
	s_clause 0x1
	global_load_b128 v[60:63], v2, s[2:3] offset:144
	global_load_b128 v[56:59], v2, s[2:3] offset:128
	s_waitcnt vmcnt(2)
	scratch_store_b128 off, v[3:6], off offset:208 ; 16-byte Folded Spill
	v_mul_f64 v[41:42], v[162:163], s[16:17]
	v_mul_f64 v[225:226], v[162:163], s[30:31]
	;; [unrolled: 1-line block ×3, first 2 shown]
	s_delay_alu instid0(VALU_DEP_2) | instskip(NEXT) | instid1(VALU_DEP_2)
	v_fma_f64 v[124:125], v[148:149], s[28:29], -v[225:226]
	v_fma_f64 v[237:238], v[148:149], s[24:25], -v[235:236]
	s_waitcnt vmcnt(1)
	v_mul_f64 v[0:1], v[86:87], v[62:63]
	s_delay_alu instid0(VALU_DEP_1) | instskip(SKIP_1) | instid1(VALU_DEP_2)
	v_fma_f64 v[115:116], v[84:85], v[60:61], -v[0:1]
	v_mul_f64 v[0:1], v[84:85], v[62:63]
	v_add_f64 v[152:153], v[110:111], v[115:116]
	s_delay_alu instid0(VALU_DEP_2) | instskip(SKIP_2) | instid1(VALU_DEP_3)
	v_fma_f64 v[117:118], v[86:87], v[60:61], v[0:1]
	v_mul_f64 v[0:1], v[46:47], v[5:6]
	v_add_f64 v[178:179], v[110:111], -v[115:116]
	v_add_f64 v[164:165], v[172:173], -v[117:118]
	s_delay_alu instid0(VALU_DEP_3)
	v_fma_f64 v[128:129], v[44:45], v[3:4], -v[0:1]
	v_mul_f64 v[0:1], v[44:45], v[5:6]
	v_add_f64 v[166:167], v[172:173], v[117:118]
	v_mul_f64 v[198:199], v[178:179], s[20:21]
	v_mul_f64 v[221:222], v[178:179], s[38:39]
	;; [unrolled: 1-line block ×5, first 2 shown]
	v_fma_f64 v[45:46], v[46:47], v[3:4], v[0:1]
	s_waitcnt vmcnt(0)
	v_mul_f64 v[0:1], v[50:51], v[58:59]
	s_delay_alu instid0(VALU_DEP_1) | instskip(SKIP_1) | instid1(VALU_DEP_2)
	v_fma_f64 v[119:120], v[48:49], v[56:57], -v[0:1]
	v_mul_f64 v[0:1], v[48:49], v[58:59]
	v_add_f64 v[170:171], v[128:129], v[119:120]
	s_delay_alu instid0(VALU_DEP_2)
	v_fma_f64 v[121:122], v[50:51], v[56:57], v[0:1]
	s_clause 0x1
	global_load_b128 v[3:6], v2, s[2:3] offset:64
	global_load_b128 v[48:51], v2, s[2:3] offset:80
	v_add_f64 v[190:191], v[128:129], -v[119:120]
	v_add_f64 v[188:189], v[45:46], -v[121:122]
	v_add_f64 v[180:181], v[45:46], v[121:122]
	s_delay_alu instid0(VALU_DEP_3) | instskip(SKIP_1) | instid1(VALU_DEP_4)
	v_mul_f64 v[43:44], v[190:191], s[26:27]
	v_mul_f64 v[245:246], v[190:191], s[20:21]
	;; [unrolled: 1-line block ×4, first 2 shown]
	s_waitcnt vmcnt(1)
	v_mul_f64 v[0:1], v[70:71], v[5:6]
	scratch_store_b128 off, v[3:6], off offset:248 ; 16-byte Folded Spill
	v_fma_f64 v[130:131], v[68:69], v[3:4], -v[0:1]
	v_mul_f64 v[0:1], v[68:69], v[5:6]
	s_delay_alu instid0(VALU_DEP_1)
	v_fma_f64 v[132:133], v[70:71], v[3:4], v[0:1]
	s_clause 0x1
	global_load_b128 v[84:87], v2, s[2:3] offset:112
	global_load_b128 v[68:71], v2, s[2:3] offset:96
	v_fma_f64 v[2:3], v[144:145], s[10:11], v[186:187]
	v_fma_f64 v[4:5], v[148:149], s[10:11], -v[41:42]
	s_clause 0x3
	scratch_store_b64 off, v[11:12], off offset:8
	scratch_store_b32 off, v40, off offset:188
	scratch_store_b64 off, v[9:10], off offset:272
	scratch_store_b64 off, v[7:8], off offset:264
	v_mul_f64 v[6:7], v[162:163], s[26:27]
	s_delay_alu instid0(VALU_DEP_1) | instskip(SKIP_2) | instid1(VALU_DEP_1)
	v_fma_f64 v[8:9], v[148:149], s[22:23], -v[6:7]
	s_waitcnt vmcnt(1)
	v_mul_f64 v[0:1], v[98:99], v[86:87]
	v_fma_f64 v[134:135], v[96:97], v[84:85], -v[0:1]
	v_mul_f64 v[0:1], v[96:97], v[86:87]
	s_delay_alu instid0(VALU_DEP_2) | instskip(NEXT) | instid1(VALU_DEP_2)
	v_add_f64 v[184:185], v[130:131], v[134:135]
	v_fma_f64 v[136:137], v[98:99], v[84:85], v[0:1]
	v_mul_f64 v[0:1], v[82:83], v[50:51]
	v_add_f64 v[206:207], v[130:131], -v[134:135]
	s_delay_alu instid0(VALU_DEP_3) | instskip(NEXT) | instid1(VALU_DEP_3)
	v_add_f64 v[200:201], v[132:133], -v[136:137]
	v_fma_f64 v[138:139], v[80:81], v[48:49], -v[0:1]
	v_mul_f64 v[0:1], v[80:81], v[50:51]
	v_add_f64 v[196:197], v[132:133], v[136:137]
	v_mul_f64 v[211:212], v[206:207], s[40:41]
	v_mul_f64 v[100:101], v[206:207], s[16:17]
	;; [unrolled: 1-line block ×5, first 2 shown]
	v_fma_f64 v[82:83], v[82:83], v[48:49], v[0:1]
	s_waitcnt vmcnt(0)
	v_mul_f64 v[0:1], v[94:95], v[70:71]
	s_delay_alu instid0(VALU_DEP_1) | instskip(SKIP_1) | instid1(VALU_DEP_2)
	v_fma_f64 v[80:81], v[92:93], v[68:69], -v[0:1]
	v_mul_f64 v[0:1], v[92:93], v[70:71]
	v_add_f64 v[192:193], v[138:139], v[80:81]
	s_delay_alu instid0(VALU_DEP_2) | instskip(SKIP_2) | instid1(VALU_DEP_3)
	v_fma_f64 v[140:141], v[94:95], v[68:69], v[0:1]
	v_fma_f64 v[0:1], v[253:254], s[12:13], v[20:21]
	v_add_f64 v[217:218], v[138:139], -v[80:81]
	v_add_f64 v[215:216], v[82:83], -v[140:141]
	s_delay_alu instid0(VALU_DEP_3) | instskip(SKIP_1) | instid1(VALU_DEP_4)
	v_add_f64 v[0:1], v[76:77], v[0:1]
	v_add_f64 v[202:203], v[82:83], v[140:141]
	v_mul_f64 v[213:214], v[217:218], s[30:31]
	v_mul_f64 v[227:228], v[217:218], s[34:35]
	;; [unrolled: 1-line block ×4, first 2 shown]
	v_add_f64 v[0:1], v[2:3], v[0:1]
	v_fma_f64 v[2:3], v[24:25], s[12:13], -v[26:27]
	v_mul_f64 v[36:37], v[215:216], s[34:35]
	v_mul_f64 v[233:234], v[215:216], s[40:41]
	s_delay_alu instid0(VALU_DEP_3) | instskip(NEXT) | instid1(VALU_DEP_3)
	v_add_f64 v[2:3], v[78:79], v[2:3]
	v_fma_f64 v[94:95], v[192:193], s[12:13], v[36:37]
	s_delay_alu instid0(VALU_DEP_2) | instskip(SKIP_1) | instid1(VALU_DEP_1)
	v_add_f64 v[2:3], v[4:5], v[2:3]
	v_fma_f64 v[4:5], v[152:153], s[18:19], v[194:195]
	v_add_f64 v[0:1], v[4:5], v[0:1]
	v_fma_f64 v[4:5], v[166:167], s[18:19], -v[198:199]
	s_delay_alu instid0(VALU_DEP_1) | instskip(SKIP_1) | instid1(VALU_DEP_1)
	v_add_f64 v[2:3], v[4:5], v[2:3]
	v_fma_f64 v[4:5], v[170:171], s[22:23], v[204:205]
	v_add_f64 v[0:1], v[4:5], v[0:1]
	v_fma_f64 v[4:5], v[180:181], s[22:23], -v[43:44]
	s_delay_alu instid0(VALU_DEP_1) | instskip(SKIP_1) | instid1(VALU_DEP_1)
	;; [unrolled: 5-line block ×4, first 2 shown]
	v_add_f64 v[158:159], v[0:1], v[2:3]
	v_fma_f64 v[0:1], v[253:254], s[10:11], v[30:31]
	v_add_f64 v[2:3], v[76:77], v[0:1]
	v_mul_f64 v[0:1], v[160:161], s[26:27]
	s_delay_alu instid0(VALU_DEP_1) | instskip(NEXT) | instid1(VALU_DEP_1)
	v_fma_f64 v[4:5], v[144:145], s[22:23], v[0:1]
	v_add_f64 v[4:5], v[4:5], v[2:3]
	v_fma_f64 v[2:3], v[24:25], s[10:11], -v[32:33]
	s_delay_alu instid0(VALU_DEP_1) | instskip(NEXT) | instid1(VALU_DEP_1)
	v_add_f64 v[2:3], v[78:79], v[2:3]
	v_add_f64 v[8:9], v[8:9], v[2:3]
	v_mul_f64 v[2:3], v[164:165], s[30:31]
	s_delay_alu instid0(VALU_DEP_1) | instskip(NEXT) | instid1(VALU_DEP_1)
	v_fma_f64 v[10:11], v[152:153], s[28:29], v[2:3]
	v_add_f64 v[12:13], v[10:11], v[4:5]
	v_mul_f64 v[10:11], v[178:179], s[30:31]
	s_delay_alu instid0(VALU_DEP_1) | instskip(NEXT) | instid1(VALU_DEP_1)
	v_fma_f64 v[4:5], v[166:167], s[28:29], -v[10:11]
	v_add_f64 v[8:9], v[4:5], v[8:9]
	v_mul_f64 v[4:5], v[188:189], s[46:47]
	s_delay_alu instid0(VALU_DEP_1) | instskip(NEXT) | instid1(VALU_DEP_1)
	v_fma_f64 v[14:15], v[170:171], s[24:25], v[4:5]
	v_add_f64 v[14:15], v[14:15], v[12:13]
	v_mul_f64 v[12:13], v[190:191], s[46:47]
	s_delay_alu instid0(VALU_DEP_1) | instskip(NEXT) | instid1(VALU_DEP_1)
	v_fma_f64 v[18:19], v[180:181], s[24:25], -v[12:13]
	v_add_f64 v[34:35], v[18:19], v[8:9]
	v_mul_f64 v[8:9], v[200:201], s[36:37]
	s_delay_alu instid0(VALU_DEP_1) | instskip(NEXT) | instid1(VALU_DEP_1)
	v_fma_f64 v[18:19], v[184:185], s[18:19], v[8:9]
	v_add_f64 v[92:93], v[18:19], v[14:15]
	v_mul_f64 v[18:19], v[206:207], s[36:37]
	s_delay_alu instid0(VALU_DEP_2) | instskip(NEXT) | instid1(VALU_DEP_2)
	v_add_f64 v[96:97], v[94:95], v[92:93]
	v_fma_f64 v[14:15], v[196:197], s[18:19], -v[18:19]
	v_fma_f64 v[92:93], v[202:203], s[12:13], -v[227:228]
	v_fma_f64 v[94:95], v[144:145], s[28:29], v[38:39]
	s_delay_alu instid0(VALU_DEP_3) | instskip(SKIP_1) | instid1(VALU_DEP_2)
	v_add_f64 v[34:35], v[14:15], v[34:35]
	v_mul_f64 v[14:15], v[190:191], s[34:35]
	v_add_f64 v[98:99], v[92:93], v[34:35]
	v_mul_f64 v[34:35], v[22:23], s[20:21]
	s_delay_alu instid0(VALU_DEP_1) | instskip(NEXT) | instid1(VALU_DEP_1)
	v_fma_f64 v[92:93], v[253:254], s[18:19], v[34:35]
	v_add_f64 v[92:93], v[76:77], v[92:93]
	s_delay_alu instid0(VALU_DEP_1) | instskip(SKIP_1) | instid1(VALU_DEP_1)
	v_add_f64 v[92:93], v[94:95], v[92:93]
	v_fma_f64 v[94:95], v[24:25], s[18:19], -v[146:147]
	v_add_f64 v[94:95], v[78:79], v[94:95]
	s_delay_alu instid0(VALU_DEP_1) | instskip(SKIP_1) | instid1(VALU_DEP_1)
	v_add_f64 v[94:95], v[124:125], v[94:95]
	v_fma_f64 v[124:125], v[152:153], s[22:23], v[223:224]
	v_add_f64 v[92:93], v[124:125], v[92:93]
	v_fma_f64 v[124:125], v[166:167], s[22:23], -v[221:222]
	s_delay_alu instid0(VALU_DEP_1) | instskip(SKIP_1) | instid1(VALU_DEP_1)
	v_add_f64 v[94:95], v[124:125], v[94:95]
	v_fma_f64 v[124:125], v[170:171], s[12:13], v[219:220]
	v_add_f64 v[92:93], v[124:125], v[92:93]
	v_fma_f64 v[124:125], v[180:181], s[12:13], -v[14:15]
	;; [unrolled: 5-line block ×3, first 2 shown]
	s_delay_alu instid0(VALU_DEP_1) | instskip(SKIP_1) | instid1(VALU_DEP_1)
	v_add_f64 v[94:95], v[124:125], v[94:95]
	v_fma_f64 v[124:125], v[192:193], s[24:25], v[233:234]
	v_add_f64 v[124:125], v[124:125], v[92:93]
	v_mul_f64 v[92:93], v[217:218], s[40:41]
	scratch_store_b64 off, v[100:101], off offset:280 ; 8-byte Folded Spill
	v_fma_f64 v[100:101], v[202:203], s[10:11], -v[104:105]
	scratch_store_b64 off, v[92:93], off offset:288 ; 8-byte Folded Spill
	v_fma_f64 v[92:93], v[202:203], s[24:25], -v[92:93]
	s_waitcnt_vscnt null, 0x0
	s_barrier
	buffer_gl0_inv
	v_add_f64 v[126:127], v[92:93], v[94:95]
	v_fma_f64 v[92:93], v[253:254], s[22:23], v[150:151]
	v_fma_f64 v[94:95], v[144:145], s[24:25], v[229:230]
	s_delay_alu instid0(VALU_DEP_2) | instskip(NEXT) | instid1(VALU_DEP_1)
	v_add_f64 v[92:93], v[76:77], v[92:93]
	v_add_f64 v[92:93], v[94:95], v[92:93]
	v_fma_f64 v[94:95], v[24:25], s[22:23], -v[154:155]
	s_delay_alu instid0(VALU_DEP_1) | instskip(NEXT) | instid1(VALU_DEP_1)
	v_add_f64 v[94:95], v[78:79], v[94:95]
	v_add_f64 v[94:95], v[237:238], v[94:95]
	v_mul_f64 v[237:238], v[164:165], s[34:35]
	s_delay_alu instid0(VALU_DEP_1) | instskip(NEXT) | instid1(VALU_DEP_1)
	v_fma_f64 v[239:240], v[152:153], s[12:13], v[237:238]
	v_add_f64 v[92:93], v[239:240], v[92:93]
	v_fma_f64 v[239:240], v[166:167], s[12:13], -v[247:248]
	s_delay_alu instid0(VALU_DEP_1) | instskip(SKIP_1) | instid1(VALU_DEP_1)
	v_add_f64 v[94:95], v[239:240], v[94:95]
	v_mul_f64 v[239:240], v[188:189], s[20:21]
	v_fma_f64 v[241:242], v[170:171], s[18:19], v[239:240]
	s_delay_alu instid0(VALU_DEP_1) | instskip(SKIP_1) | instid1(VALU_DEP_1)
	v_add_f64 v[92:93], v[241:242], v[92:93]
	v_fma_f64 v[241:242], v[180:181], s[18:19], -v[245:246]
	v_add_f64 v[94:95], v[241:242], v[94:95]
	v_mul_f64 v[241:242], v[200:201], s[44:45]
	s_delay_alu instid0(VALU_DEP_1) | instskip(NEXT) | instid1(VALU_DEP_1)
	v_fma_f64 v[243:244], v[184:185], s[28:29], v[241:242]
	v_add_f64 v[92:93], v[243:244], v[92:93]
	v_fma_f64 v[243:244], v[196:197], s[28:29], -v[249:250]
	s_delay_alu instid0(VALU_DEP_1) | instskip(SKIP_1) | instid1(VALU_DEP_2)
	v_add_f64 v[94:95], v[243:244], v[94:95]
	v_mul_f64 v[243:244], v[215:216], s[42:43]
	v_add_f64 v[94:95], v[100:101], v[94:95]
	s_delay_alu instid0(VALU_DEP_2) | instskip(NEXT) | instid1(VALU_DEP_1)
	v_fma_f64 v[251:252], v[192:193], s[10:11], v[243:244]
	v_add_f64 v[92:93], v[251:252], v[92:93]
	s_and_saveexec_b32 s1, s0
	s_cbranch_execz .LBB0_11
; %bb.10:
	v_mul_f64 v[100:101], v[24:25], s[28:29]
	s_clause 0x1
	scratch_store_b64 off, v[102:103], off offset:296
	scratch_store_b64 off, v[172:173], off offset:304
	v_mul_f64 v[102:103], v[24:25], s[24:25]
	v_add_f64 v[176:177], v[78:79], v[176:177]
	scratch_store_b64 off, v[108:109], off offset:320 ; 8-byte Folded Spill
	v_add_f64 v[174:175], v[76:77], v[174:175]
	v_dual_mov_b32 v252, v113 :: v_dual_mov_b32 v251, v112
	v_mov_b32_e32 v47, v114
	v_mov_b32_e32 v40, v182
	v_mul_f64 v[182:183], v[202:203], s[18:19]
	v_fma_f64 v[168:169], v[28:29], s[44:45], v[100:101]
	v_fma_f64 v[100:101], v[28:29], s[30:31], v[100:101]
	;; [unrolled: 1-line block ×4, first 2 shown]
	v_mul_f64 v[102:103], v[24:25], s[22:23]
	scratch_store_b64 off, v[176:177], off offset:336 ; 8-byte Folded Spill
	v_add_f64 v[168:169], v[78:79], v[168:169]
	v_add_f64 v[100:101], v[78:79], v[100:101]
	;; [unrolled: 1-line block ×4, first 2 shown]
	v_mul_f64 v[154:155], v[253:254], s[22:23]
	s_delay_alu instid0(VALU_DEP_2) | instskip(NEXT) | instid1(VALU_DEP_2)
	v_add_f64 v[102:103], v[78:79], v[102:103]
	v_add_f64 v[150:151], v[154:155], -v[150:151]
	v_mul_f64 v[154:155], v[24:25], s[18:19]
	s_delay_alu instid0(VALU_DEP_1) | instskip(SKIP_1) | instid1(VALU_DEP_1)
	v_add_f64 v[146:147], v[146:147], v[154:155]
	v_mul_f64 v[154:155], v[253:254], s[18:19]
	v_add_f64 v[34:35], v[154:155], -v[34:35]
	v_mul_f64 v[154:155], v[24:25], s[10:11]
	v_mul_f64 v[24:25], v[24:25], s[12:13]
	s_delay_alu instid0(VALU_DEP_3) | instskip(NEXT) | instid1(VALU_DEP_3)
	v_add_f64 v[34:35], v[76:77], v[34:35]
	v_add_f64 v[32:33], v[32:33], v[154:155]
	v_mul_f64 v[154:155], v[253:254], s[10:11]
	s_delay_alu instid0(VALU_DEP_4) | instskip(SKIP_4) | instid1(VALU_DEP_4)
	v_add_f64 v[24:25], v[26:27], v[24:25]
	v_mul_f64 v[26:27], v[22:23], s[30:31]
	v_mul_f64 v[22:23], v[22:23], s[40:41]
	v_add_f64 v[32:33], v[78:79], v[32:33]
	v_add_f64 v[30:31], v[154:155], -v[30:31]
	v_fma_f64 v[154:155], v[253:254], s[28:29], v[26:27]
	v_fma_f64 v[26:27], v[253:254], s[28:29], -v[26:27]
	v_fma_f64 v[108:109], v[253:254], s[24:25], v[22:23]
	v_fma_f64 v[22:23], v[253:254], s[24:25], -v[22:23]
	v_mul_f64 v[253:254], v[253:254], s[12:13]
	v_add_f64 v[30:31], v[76:77], v[30:31]
	v_add_f64 v[154:155], v[76:77], v[154:155]
	v_add_f64 v[26:27], v[76:77], v[26:27]
	v_add_f64 v[108:109], v[76:77], v[108:109]
	v_add_f64 v[22:23], v[76:77], v[22:23]
	v_add_f64 v[20:21], v[253:254], -v[20:21]
	v_add_f64 v[253:254], v[78:79], v[28:29]
	v_add_f64 v[28:29], v[78:79], v[146:147]
	;; [unrolled: 1-line block ×3, first 2 shown]
	v_mul_f64 v[24:25], v[148:149], s[12:13]
	v_dual_mov_b32 v147, v116 :: v_dual_mov_b32 v146, v115
	scratch_store_b64 off, v[22:23], off offset:384 ; 8-byte Folded Spill
	v_add_f64 v[20:21], v[76:77], v[20:21]
	s_clause 0x2
	scratch_store_b64 off, v[174:175], off offset:352
	scratch_store_b64 off, v[172:173], off offset:376
	;; [unrolled: 1-line block ×3, first 2 shown]
	v_add_f64 v[172:173], v[76:77], v[150:151]
	v_dual_mov_b32 v151, v111 :: v_dual_mov_b32 v150, v110
	v_dual_mov_b32 v108, v117 :: v_dual_mov_b32 v109, v118
	;; [unrolled: 1-line block ×5, first 2 shown]
	v_mul_f64 v[186:187], v[215:216], s[36:37]
	scratch_store_b64 off, v[20:21], off offset:360 ; 8-byte Folded Spill
	v_fma_f64 v[20:21], v[162:163], s[14:15], v[24:25]
	v_fma_f64 v[24:25], v[162:163], s[34:35], v[24:25]
	s_delay_alu instid0(VALU_DEP_2) | instskip(SKIP_1) | instid1(VALU_DEP_3)
	v_add_f64 v[20:21], v[20:21], v[168:169]
	v_mul_f64 v[168:169], v[160:161], s[34:35]
	v_add_f64 v[24:25], v[24:25], v[100:101]
	v_fma_f64 v[100:101], v[192:193], s[18:19], -v[186:187]
	s_delay_alu instid0(VALU_DEP_3) | instskip(NEXT) | instid1(VALU_DEP_1)
	v_fma_f64 v[22:23], v[144:145], s[12:13], v[168:169]
	v_add_f64 v[22:23], v[22:23], v[154:155]
	v_mul_f64 v[154:155], v[166:167], s[24:25]
	s_delay_alu instid0(VALU_DEP_1) | instskip(NEXT) | instid1(VALU_DEP_1)
	v_fma_f64 v[174:175], v[178:179], s[46:47], v[154:155]
	v_add_f64 v[20:21], v[174:175], v[20:21]
	v_mul_f64 v[174:175], v[164:165], s[40:41]
	s_delay_alu instid0(VALU_DEP_1) | instskip(NEXT) | instid1(VALU_DEP_1)
	;; [unrolled: 4-line block ×6, first 2 shown]
	v_fma_f64 v[76:77], v[184:185], s[22:23], v[114:115]
	v_add_f64 v[76:77], v[76:77], v[22:23]
	v_fma_f64 v[22:23], v[217:218], s[20:21], v[182:183]
	s_delay_alu instid0(VALU_DEP_1) | instskip(SKIP_1) | instid1(VALU_DEP_1)
	v_add_f64 v[22:23], v[22:23], v[20:21]
	v_fma_f64 v[20:21], v[192:193], s[18:19], v[186:187]
	v_add_f64 v[20:21], v[20:21], v[76:77]
	v_fma_f64 v[76:77], v[144:145], s[12:13], -v[168:169]
	s_delay_alu instid0(VALU_DEP_1) | instskip(SKIP_1) | instid1(VALU_DEP_1)
	v_add_f64 v[26:27], v[76:77], v[26:27]
	v_fma_f64 v[76:77], v[178:179], s[40:41], v[154:155]
	v_add_f64 v[24:25], v[76:77], v[24:25]
	v_fma_f64 v[76:77], v[152:153], s[24:25], -v[174:175]
	;; [unrolled: 5-line block ×3, first 2 shown]
	v_mul_f64 v[110:111], v[215:216], s[26:27]
	s_delay_alu instid0(VALU_DEP_2) | instskip(SKIP_2) | instid1(VALU_DEP_2)
	v_add_f64 v[26:27], v[76:77], v[26:27]
	v_fma_f64 v[76:77], v[206:207], s[26:27], v[112:113]
	v_mul_f64 v[112:113], v[202:203], s[22:23]
	v_add_f64 v[24:25], v[76:77], v[24:25]
	v_fma_f64 v[76:77], v[184:185], s[22:23], -v[114:115]
	v_mov_b32_e32 v114, v47
	s_delay_alu instid0(VALU_DEP_2) | instskip(SKIP_2) | instid1(VALU_DEP_2)
	v_add_f64 v[76:77], v[76:77], v[26:27]
	v_fma_f64 v[26:27], v[217:218], s[36:37], v[182:183]
	v_mov_b32_e32 v182, v40
	v_add_f64 v[26:27], v[26:27], v[24:25]
	s_delay_alu instid0(VALU_DEP_4) | instskip(SKIP_1) | instid1(VALU_DEP_1)
	v_add_f64 v[24:25], v[100:101], v[76:77]
	v_mul_f64 v[76:77], v[148:149], s[22:23]
	v_add_f64 v[6:7], v[6:7], v[76:77]
	v_mul_f64 v[76:77], v[144:145], s[22:23]
	s_delay_alu instid0(VALU_DEP_2) | instskip(NEXT) | instid1(VALU_DEP_2)
	v_add_f64 v[6:7], v[6:7], v[32:33]
	v_add_f64 v[0:1], v[76:77], -v[0:1]
	v_mul_f64 v[76:77], v[166:167], s[28:29]
	v_mul_f64 v[32:33], v[196:197], s[28:29]
	s_delay_alu instid0(VALU_DEP_3) | instskip(NEXT) | instid1(VALU_DEP_3)
	v_add_f64 v[0:1], v[0:1], v[30:31]
	v_add_f64 v[10:11], v[10:11], v[76:77]
	v_mul_f64 v[76:77], v[152:153], s[28:29]
	v_mul_f64 v[30:31], v[184:185], s[18:19]
	v_add_f64 v[32:33], v[249:250], v[32:33]
	s_delay_alu instid0(VALU_DEP_4) | instskip(NEXT) | instid1(VALU_DEP_4)
	v_add_f64 v[6:7], v[10:11], v[6:7]
	v_add_f64 v[2:3], v[76:77], -v[2:3]
	v_mul_f64 v[76:77], v[180:181], s[24:25]
	v_mul_f64 v[10:11], v[152:153], s[22:23]
	v_add_f64 v[8:9], v[30:31], -v[8:9]
	scratch_load_b64 v[30:31], off, off offset:280 ; 8-byte Folded Reload
	v_add_f64 v[0:1], v[2:3], v[0:1]
	v_add_f64 v[12:13], v[12:13], v[76:77]
	v_mul_f64 v[76:77], v[170:171], s[24:25]
	v_mul_f64 v[2:3], v[202:203], s[12:13]
	v_add_f64 v[10:11], v[10:11], -v[223:224]
	s_delay_alu instid0(VALU_DEP_4) | instskip(NEXT) | instid1(VALU_DEP_4)
	v_add_f64 v[6:7], v[12:13], v[6:7]
	v_add_f64 v[4:5], v[76:77], -v[4:5]
	v_mul_f64 v[76:77], v[196:197], s[18:19]
	v_add_f64 v[2:3], v[227:228], v[2:3]
	v_mul_f64 v[12:13], v[180:181], s[12:13]
	s_delay_alu instid0(VALU_DEP_4) | instskip(NEXT) | instid1(VALU_DEP_4)
	v_add_f64 v[0:1], v[4:5], v[0:1]
	v_add_f64 v[18:19], v[18:19], v[76:77]
	v_mul_f64 v[4:5], v[192:193], s[12:13]
	s_delay_alu instid0(VALU_DEP_4)
	v_add_f64 v[12:13], v[14:15], v[12:13]
	v_mul_f64 v[14:15], v[170:171], s[12:13]
	v_add_f64 v[0:1], v[8:9], v[0:1]
	v_add_f64 v[6:7], v[18:19], v[6:7]
	v_add_f64 v[4:5], v[4:5], -v[36:37]
	v_mul_f64 v[8:9], v[166:167], s[22:23]
	v_mul_f64 v[18:19], v[196:197], s[10:11]
	v_add_f64 v[14:15], v[14:15], -v[219:220]
	scratch_load_b64 v[36:37], off, off offset:376 ; 8-byte Folded Reload
	v_add_f64 v[2:3], v[2:3], v[6:7]
	v_mul_f64 v[6:7], v[144:145], s[28:29]
	v_add_f64 v[0:1], v[4:5], v[0:1]
	v_mul_f64 v[4:5], v[148:149], s[28:29]
	v_add_f64 v[8:9], v[221:222], v[8:9]
	s_delay_alu instid0(VALU_DEP_4) | instskip(NEXT) | instid1(VALU_DEP_3)
	v_add_f64 v[6:7], v[6:7], -v[38:39]
	v_add_f64 v[4:5], v[225:226], v[4:5]
	s_delay_alu instid0(VALU_DEP_2) | instskip(SKIP_1) | instid1(VALU_DEP_3)
	v_add_f64 v[6:7], v[6:7], v[34:35]
	v_mul_f64 v[34:35], v[184:185], s[28:29]
	v_add_f64 v[4:5], v[4:5], v[28:29]
	v_mul_f64 v[28:29], v[160:161], s[36:37]
	s_delay_alu instid0(VALU_DEP_4)
	v_add_f64 v[6:7], v[10:11], v[6:7]
	scratch_load_b64 v[10:11], off, off offset:288 ; 8-byte Folded Reload
	v_add_f64 v[4:5], v[8:9], v[4:5]
	v_mul_f64 v[8:9], v[202:203], s[24:25]
	v_add_f64 v[34:35], v[34:35], -v[241:242]
	s_waitcnt vmcnt(2)
	v_add_f64 v[18:19], v[30:31], v[18:19]
	v_mul_f64 v[30:31], v[184:185], s[10:11]
	v_add_f64 v[6:7], v[14:15], v[6:7]
	v_mul_f64 v[14:15], v[144:145], s[24:25]
	v_add_f64 v[4:5], v[12:13], v[4:5]
	s_delay_alu instid0(VALU_DEP_4) | instskip(NEXT) | instid1(VALU_DEP_3)
	v_add_f64 v[30:31], v[30:31], -v[231:232]
	v_add_f64 v[14:15], v[14:15], -v[229:230]
	s_delay_alu instid0(VALU_DEP_3) | instskip(SKIP_1) | instid1(VALU_DEP_4)
	v_add_f64 v[4:5], v[18:19], v[4:5]
	v_mul_f64 v[18:19], v[180:181], s[18:19]
	v_add_f64 v[12:13], v[30:31], v[6:7]
	v_mul_f64 v[30:31], v[170:171], s[18:19]
	v_add_f64 v[14:15], v[14:15], v[172:173]
	s_delay_alu instid0(VALU_DEP_4) | instskip(NEXT) | instid1(VALU_DEP_3)
	v_add_f64 v[18:19], v[245:246], v[18:19]
	v_add_f64 v[30:31], v[30:31], -v[239:240]
	s_waitcnt vmcnt(0)
	v_add_f64 v[8:9], v[10:11], v[8:9]
	v_mul_f64 v[10:11], v[192:193], s[24:25]
	s_delay_alu instid0(VALU_DEP_2) | instskip(NEXT) | instid1(VALU_DEP_2)
	v_add_f64 v[6:7], v[8:9], v[4:5]
	v_add_f64 v[10:11], v[10:11], -v[233:234]
	v_mul_f64 v[8:9], v[166:167], s[12:13]
	s_delay_alu instid0(VALU_DEP_2) | instskip(SKIP_2) | instid1(VALU_DEP_4)
	v_add_f64 v[4:5], v[10:11], v[12:13]
	v_mul_f64 v[10:11], v[148:149], s[24:25]
	v_mul_f64 v[12:13], v[152:153], s[12:13]
	v_add_f64 v[8:9], v[247:248], v[8:9]
	s_delay_alu instid0(VALU_DEP_3) | instskip(NEXT) | instid1(VALU_DEP_3)
	v_add_f64 v[10:11], v[235:236], v[10:11]
	v_add_f64 v[12:13], v[12:13], -v[237:238]
	s_delay_alu instid0(VALU_DEP_2) | instskip(NEXT) | instid1(VALU_DEP_1)
	v_add_f64 v[10:11], v[10:11], v[102:103]
	v_add_f64 v[8:9], v[8:9], v[10:11]
	s_delay_alu instid0(VALU_DEP_3) | instskip(SKIP_2) | instid1(VALU_DEP_4)
	v_add_f64 v[10:11], v[12:13], v[14:15]
	v_mul_f64 v[12:13], v[202:203], s[10:11]
	v_mul_f64 v[14:15], v[192:193], s[10:11]
	v_add_f64 v[8:9], v[18:19], v[8:9]
	s_delay_alu instid0(VALU_DEP_4) | instskip(NEXT) | instid1(VALU_DEP_4)
	v_add_f64 v[10:11], v[30:31], v[10:11]
	v_add_f64 v[12:13], v[104:105], v[12:13]
	s_delay_alu instid0(VALU_DEP_4) | instskip(SKIP_3) | instid1(VALU_DEP_2)
	v_add_f64 v[14:15], v[14:15], -v[243:244]
	scratch_load_b64 v[30:31], off, off offset:384 ; 8-byte Folded Reload
	v_add_f64 v[8:9], v[32:33], v[8:9]
	v_add_f64 v[18:19], v[34:35], v[10:11]
	;; [unrolled: 1-line block ×3, first 2 shown]
	s_delay_alu instid0(VALU_DEP_2) | instskip(SKIP_3) | instid1(VALU_DEP_3)
	v_add_f64 v[8:9], v[14:15], v[18:19]
	v_mul_f64 v[18:19], v[148:149], s[18:19]
	v_fma_f64 v[14:15], v[144:145], s[18:19], -v[28:29]
	v_fma_f64 v[28:29], v[144:145], s[18:19], v[28:29]
	v_fma_f64 v[12:13], v[162:163], s[36:37], v[18:19]
	;; [unrolled: 1-line block ×3, first 2 shown]
	s_delay_alu instid0(VALU_DEP_2) | instskip(NEXT) | instid1(VALU_DEP_2)
	v_add_f64 v[12:13], v[12:13], v[253:254]
	v_add_f64 v[18:19], v[18:19], v[36:37]
	scratch_load_b64 v[36:37], off, off offset:368 ; 8-byte Folded Reload
	s_waitcnt vmcnt(0)
	v_add_f64 v[28:29], v[28:29], v[36:37]
	scratch_load_b64 v[36:37], off, off offset:360 ; 8-byte Folded Reload
	v_add_f64 v[14:15], v[14:15], v[30:31]
	v_mul_f64 v[30:31], v[166:167], s[10:11]
	s_delay_alu instid0(VALU_DEP_1) | instskip(SKIP_1) | instid1(VALU_DEP_2)
	v_fma_f64 v[32:33], v[178:179], s[16:17], v[30:31]
	v_fma_f64 v[30:31], v[178:179], s[42:43], v[30:31]
	v_add_f64 v[12:13], v[32:33], v[12:13]
	v_mul_f64 v[32:33], v[164:165], s[16:17]
	s_delay_alu instid0(VALU_DEP_3) | instskip(NEXT) | instid1(VALU_DEP_2)
	v_add_f64 v[18:19], v[30:31], v[18:19]
	v_fma_f64 v[34:35], v[152:153], s[10:11], -v[32:33]
	v_fma_f64 v[30:31], v[152:153], s[10:11], v[32:33]
	v_fma_f64 v[32:33], v[192:193], s[22:23], v[110:111]
	s_delay_alu instid0(VALU_DEP_3) | instskip(SKIP_1) | instid1(VALU_DEP_4)
	v_add_f64 v[14:15], v[34:35], v[14:15]
	v_mul_f64 v[34:35], v[180:181], s[28:29]
	v_add_f64 v[28:29], v[30:31], v[28:29]
	s_delay_alu instid0(VALU_DEP_2) | instskip(SKIP_1) | instid1(VALU_DEP_2)
	v_fma_f64 v[76:77], v[190:191], s[44:45], v[34:35]
	v_fma_f64 v[34:35], v[190:191], s[30:31], v[34:35]
	v_add_f64 v[12:13], v[76:77], v[12:13]
	v_mul_f64 v[76:77], v[188:189], s[44:45]
	s_delay_alu instid0(VALU_DEP_3) | instskip(SKIP_1) | instid1(VALU_DEP_3)
	v_add_f64 v[18:19], v[34:35], v[18:19]
	v_mul_f64 v[34:35], v[166:167], s[18:19]
	v_fma_f64 v[100:101], v[170:171], s[28:29], -v[76:77]
	v_fma_f64 v[30:31], v[170:171], s[28:29], v[76:77]
	s_delay_alu instid0(VALU_DEP_3) | instskip(SKIP_1) | instid1(VALU_DEP_4)
	v_add_f64 v[34:35], v[198:199], v[34:35]
	v_mul_f64 v[76:77], v[152:153], s[18:19]
	v_add_f64 v[14:15], v[100:101], v[14:15]
	v_mul_f64 v[100:101], v[196:197], s[12:13]
	v_add_f64 v[28:29], v[30:31], v[28:29]
	s_delay_alu instid0(VALU_DEP_4) | instskip(NEXT) | instid1(VALU_DEP_3)
	v_add_f64 v[76:77], v[76:77], -v[204:205]
	v_fma_f64 v[102:103], v[206:207], s[34:35], v[100:101]
	v_fma_f64 v[100:101], v[206:207], s[14:15], v[100:101]
	s_delay_alu instid0(VALU_DEP_2) | instskip(SKIP_1) | instid1(VALU_DEP_3)
	v_add_f64 v[12:13], v[102:103], v[12:13]
	v_mul_f64 v[102:103], v[200:201], s[34:35]
	v_add_f64 v[18:19], v[100:101], v[18:19]
	v_mul_f64 v[100:101], v[180:181], s[22:23]
	s_delay_alu instid0(VALU_DEP_3) | instskip(SKIP_1) | instid1(VALU_DEP_3)
	v_fma_f64 v[104:105], v[184:185], s[12:13], -v[102:103]
	v_fma_f64 v[30:31], v[184:185], s[12:13], v[102:103]
	v_add_f64 v[100:101], v[43:44], v[100:101]
	v_mul_f64 v[102:103], v[170:171], s[22:23]
	s_delay_alu instid0(VALU_DEP_4) | instskip(SKIP_2) | instid1(VALU_DEP_4)
	v_add_f64 v[104:105], v[104:105], v[14:15]
	v_fma_f64 v[14:15], v[217:218], s[26:27], v[112:113]
	v_add_f64 v[28:29], v[30:31], v[28:29]
	v_add_f64 v[102:103], v[102:103], -v[116:117]
	s_delay_alu instid0(VALU_DEP_3) | instskip(SKIP_1) | instid1(VALU_DEP_4)
	v_add_f64 v[14:15], v[14:15], v[12:13]
	v_fma_f64 v[12:13], v[192:193], s[22:23], -v[110:111]
	v_add_f64 v[28:29], v[32:33], v[28:29]
	v_mul_f64 v[32:33], v[144:145], s[10:11]
	s_delay_alu instid0(VALU_DEP_3) | instskip(SKIP_1) | instid1(VALU_DEP_3)
	v_add_f64 v[12:13], v[12:13], v[104:105]
	v_fma_f64 v[104:105], v[217:218], s[38:39], v[112:113]
	v_add_f64 v[32:33], v[32:33], -v[194:195]
	s_delay_alu instid0(VALU_DEP_2) | instskip(SKIP_3) | instid1(VALU_DEP_4)
	v_add_f64 v[30:31], v[104:105], v[18:19]
	v_mul_f64 v[18:19], v[148:149], s[10:11]
	v_mul_f64 v[104:105], v[196:197], s[24:25]
	s_waitcnt vmcnt(0)
	v_add_f64 v[32:33], v[32:33], v[36:37]
	s_delay_alu instid0(VALU_DEP_3) | instskip(NEXT) | instid1(VALU_DEP_3)
	v_add_f64 v[18:19], v[41:42], v[18:19]
	v_add_f64 v[104:105], v[211:212], v[104:105]
	s_delay_alu instid0(VALU_DEP_3) | instskip(SKIP_1) | instid1(VALU_DEP_4)
	v_add_f64 v[32:33], v[76:77], v[32:33]
	v_mul_f64 v[76:77], v[192:193], s[28:29]
	v_add_f64 v[18:19], v[18:19], v[78:79]
	v_mul_f64 v[78:79], v[184:185], s[24:25]
	s_delay_alu instid0(VALU_DEP_4) | instskip(NEXT) | instid1(VALU_DEP_4)
	v_add_f64 v[32:33], v[102:103], v[32:33]
	v_add_f64 v[76:77], v[76:77], -v[208:209]
	s_delay_alu instid0(VALU_DEP_4) | instskip(SKIP_2) | instid1(VALU_DEP_3)
	v_add_f64 v[18:19], v[34:35], v[18:19]
	v_mul_f64 v[34:35], v[202:203], s[28:29]
	v_add_f64 v[78:79], v[78:79], -v[142:143]
	v_add_f64 v[18:19], v[100:101], v[18:19]
	s_delay_alu instid0(VALU_DEP_3) | instskip(NEXT) | instid1(VALU_DEP_3)
	v_add_f64 v[34:35], v[213:214], v[34:35]
	v_add_f64 v[32:33], v[78:79], v[32:33]
	s_delay_alu instid0(VALU_DEP_3) | instskip(NEXT) | instid1(VALU_DEP_2)
	v_add_f64 v[18:19], v[104:105], v[18:19]
	v_add_f64 v[32:33], v[76:77], v[32:33]
	s_delay_alu instid0(VALU_DEP_2)
	v_add_f64 v[34:35], v[34:35], v[18:19]
	s_clause 0x1
	scratch_load_b64 v[18:19], off, off offset:320
	scratch_load_b64 v[36:37], off, off offset:336
	s_waitcnt vmcnt(0)
	v_add_f64 v[18:19], v[36:37], v[18:19]
	s_clause 0x1
	scratch_load_b64 v[36:37], off, off offset:296
	scratch_load_b64 v[38:39], off, off offset:352
	s_waitcnt vmcnt(0)
	v_add_f64 v[76:77], v[38:39], v[36:37]
	scratch_load_b64 v[36:37], off, off offset:304 ; 8-byte Folded Reload
	v_add_f64 v[76:77], v[76:77], v[150:151]
	s_delay_alu instid0(VALU_DEP_1) | instskip(NEXT) | instid1(VALU_DEP_1)
	v_add_f64 v[76:77], v[76:77], v[128:129]
	v_add_f64 v[76:77], v[76:77], v[130:131]
	s_delay_alu instid0(VALU_DEP_1) | instskip(NEXT) | instid1(VALU_DEP_1)
	v_add_f64 v[76:77], v[76:77], v[138:139]
	;; [unrolled: 3-line block ×3, first 2 shown]
	v_add_f64 v[76:77], v[76:77], v[119:120]
	s_delay_alu instid0(VALU_DEP_1) | instskip(SKIP_4) | instid1(VALU_DEP_1)
	v_add_f64 v[76:77], v[76:77], v[146:147]
	s_waitcnt vmcnt(0)
	v_add_f64 v[18:19], v[18:19], v[36:37]
	scratch_load_b64 v[36:37], off, off offset:264 ; 8-byte Folded Reload
	v_add_f64 v[18:19], v[18:19], v[45:46]
	v_add_f64 v[18:19], v[18:19], v[132:133]
	s_delay_alu instid0(VALU_DEP_1) | instskip(NEXT) | instid1(VALU_DEP_1)
	v_add_f64 v[18:19], v[18:19], v[82:83]
	v_add_f64 v[18:19], v[18:19], v[140:141]
	s_delay_alu instid0(VALU_DEP_1) | instskip(NEXT) | instid1(VALU_DEP_1)
	v_add_f64 v[18:19], v[18:19], v[136:137]
	v_add_f64 v[18:19], v[18:19], v[121:122]
	s_delay_alu instid0(VALU_DEP_1) | instskip(SKIP_1) | instid1(VALU_DEP_1)
	v_add_f64 v[18:19], v[18:19], v[108:109]
	s_waitcnt vmcnt(0)
	v_add_f64 v[18:19], v[18:19], v[36:37]
	scratch_load_b64 v[36:37], off, off offset:272 ; 8-byte Folded Reload
	v_add_f64 v[78:79], v[18:19], v[251:252]
	scratch_load_b64 v[18:19], off, off offset:8 ; 8-byte Folded Reload
	s_waitcnt vmcnt(1)
	v_add_f64 v[76:77], v[76:77], v[36:37]
	s_waitcnt vmcnt(0)
	s_delay_alu instid0(VALU_DEP_1)
	v_add_f64 v[76:77], v[76:77], v[18:19]
	s_clause 0x1
	scratch_load_b32 v18, off, off offset:188
	scratch_load_b32 v19, off, off offset:184
	s_waitcnt vmcnt(1)
	v_mul_u32_u24_e32 v18, 39, v18
	s_waitcnt vmcnt(0)
	s_delay_alu instid0(VALU_DEP_1)
	v_add_lshl_u32 v18, v18, v19, 4
	ds_store_b128 v18, v[0:3] offset:96
	ds_store_b128 v18, v[4:7] offset:144
	ds_store_b128 v18, v[8:11] offset:192
	ds_store_b128 v18, v[124:127] offset:480
	ds_store_b128 v18, v[96:99] offset:528
	ds_store_b128 v18, v[12:15] offset:240
	ds_store_b128 v18, v[24:27] offset:288
	ds_store_b128 v18, v[20:23] offset:336
	ds_store_b128 v18, v[92:95] offset:432
	ds_store_b128 v18, v[28:31] offset:384
	ds_store_b128 v18, v[32:35] offset:48
	ds_store_b128 v18, v[76:79]
	ds_store_b128 v18, v[156:159] offset:576
.LBB0_11:
	s_or_b32 exec_lo, exec_lo, s1
	s_waitcnt lgkmcnt(0)
	s_waitcnt_vscnt null, 0x0
	s_barrier
	buffer_gl0_inv
	ds_load_b128 v[132:135], v255
	ds_load_b128 v[128:131], v255 offset:1872
	ds_load_b128 v[152:155], v255 offset:13728
	;; [unrolled: 1-line block ×8, first 2 shown]
	s_and_saveexec_b32 s1, vcc_lo
	s_cbranch_execz .LBB0_13
; %bb.12:
	ds_load_b128 v[92:95], v255 offset:5616
	ds_load_b128 v[124:127], v255 offset:12480
	;; [unrolled: 1-line block ×3, first 2 shown]
.LBB0_13:
	s_or_b32 exec_lo, exec_lo, s1
	v_mul_lo_u16 v0, 0xa5, v114
	v_and_b32_e32 v1, 0xff, v17
	v_and_b32_e32 v2, 0xffff, v107
	;; [unrolled: 1-line block ×3, first 2 shown]
	s_mov_b32 s10, 0xe8584caa
	v_lshrrev_b16 v0, 8, v0
	v_mul_lo_u16 v1, 0xa5, v1
	v_mul_u32_u24_e32 v2, 0xa41b, v2
	v_mul_u32_u24_e32 v3, 0xa41b, v3
	s_mov_b32 s11, 0x3febb67a
	v_sub_nc_u16 v4, v182, v0
	v_lshrrev_b16 v1, 8, v1
	v_lshrrev_b32_e32 v2, 16, v2
	v_lshrrev_b32_e32 v3, 16, v3
	s_mov_b32 s13, 0xbfebb67a
	v_lshrrev_b16 v4, 1, v4
	v_sub_nc_u16 v5, v17, v1
	v_sub_nc_u16 v6, v107, v2
	;; [unrolled: 1-line block ×3, first 2 shown]
	s_mov_b32 s12, s10
	v_and_b32_e32 v4, 0x7f, v4
	v_lshrrev_b16 v5, 1, v5
	v_lshrrev_b16 v6, 1, v6
	s_delay_alu instid0(VALU_DEP_3) | instskip(NEXT) | instid1(VALU_DEP_3)
	v_add_nc_u16 v0, v4, v0
	v_and_b32_e32 v4, 0x7f, v5
	s_delay_alu instid0(VALU_DEP_3) | instskip(SKIP_1) | instid1(VALU_DEP_4)
	v_add_nc_u16 v2, v6, v2
	v_lshrrev_b16 v5, 1, v7
	v_lshrrev_b16 v0, 5, v0
	s_delay_alu instid0(VALU_DEP_4) | instskip(NEXT) | instid1(VALU_DEP_4)
	v_add_nc_u16 v1, v4, v1
	v_lshrrev_b16 v35, 5, v2
	s_delay_alu instid0(VALU_DEP_4) | instskip(NEXT) | instid1(VALU_DEP_4)
	v_add_nc_u16 v2, v5, v3
	v_and_b32_e32 v36, 7, v0
	s_delay_alu instid0(VALU_DEP_4) | instskip(NEXT) | instid1(VALU_DEP_4)
	v_lshrrev_b16 v0, 5, v1
	v_mul_lo_u16 v1, v35, 39
	s_delay_alu instid0(VALU_DEP_4) | instskip(NEXT) | instid1(VALU_DEP_4)
	v_lshrrev_b16 v37, 5, v2
	v_mul_lo_u16 v2, v36, 39
	s_delay_alu instid0(VALU_DEP_4) | instskip(NEXT) | instid1(VALU_DEP_4)
	v_and_b32_e32 v38, 7, v0
	v_sub_nc_u16 v39, v107, v1
	s_delay_alu instid0(VALU_DEP_4) | instskip(NEXT) | instid1(VALU_DEP_4)
	v_mul_lo_u16 v0, v37, 39
	v_sub_nc_u16 v1, v182, v2
	s_delay_alu instid0(VALU_DEP_4) | instskip(NEXT) | instid1(VALU_DEP_4)
	v_mul_lo_u16 v2, v38, 39
	v_lshlrev_b16 v3, 5, v39
	s_delay_alu instid0(VALU_DEP_4) | instskip(NEXT) | instid1(VALU_DEP_4)
	v_sub_nc_u16 v40, v106, v0
	v_and_b32_e32 v41, 0xff, v1
	s_delay_alu instid0(VALU_DEP_4) | instskip(NEXT) | instid1(VALU_DEP_4)
	v_sub_nc_u16 v0, v17, v2
	v_and_b32_e32 v1, 0xffff, v3
	s_delay_alu instid0(VALU_DEP_4) | instskip(NEXT) | instid1(VALU_DEP_4)
	v_lshlrev_b16 v2, 5, v40
	v_lshlrev_b32_e32 v3, 5, v41
	s_delay_alu instid0(VALU_DEP_4) | instskip(NEXT) | instid1(VALU_DEP_4)
	v_and_b32_e32 v42, 0xff, v0
	v_add_co_u32 v0, s1, s2, v1
	s_delay_alu instid0(VALU_DEP_1)
	v_add_co_ci_u32_e64 v1, null, s3, 0, s1
	v_and_b32_e32 v2, 0xffff, v2
	s_clause 0x1
	global_load_b128 v[108:111], v3, s[2:3] offset:592
	global_load_b128 v[112:115], v3, s[2:3] offset:576
	v_lshlrev_b32_e32 v3, 5, v42
	s_clause 0x1
	global_load_b128 v[100:103], v[0:1], off offset:592
	global_load_b128 v[104:107], v[0:1], off offset:576
	v_add_co_u32 v0, s1, s2, v2
	s_delay_alu instid0(VALU_DEP_1)
	v_add_co_ci_u32_e64 v1, null, s3, 0, s1
	s_clause 0x3
	global_load_b128 v[120:123], v3, s[2:3] offset:576
	global_load_b128 v[116:119], v3, s[2:3] offset:592
	global_load_b128 v[76:79], v[0:1], off offset:576
	global_load_b128 v[43:46], v[0:1], off offset:592
	s_waitcnt vmcnt(7) lgkmcnt(6)
	v_mul_f64 v[4:5], v[154:155], v[110:111]
	s_waitcnt vmcnt(6) lgkmcnt(4)
	v_mul_f64 v[0:1], v[166:167], v[114:115]
	v_mul_f64 v[2:3], v[164:165], v[114:115]
	;; [unrolled: 1-line block ×3, first 2 shown]
	s_waitcnt vmcnt(4) lgkmcnt(1)
	v_mul_f64 v[8:9], v[162:163], v[106:107]
	v_mul_f64 v[10:11], v[160:161], v[106:107]
	s_waitcnt lgkmcnt(0)
	v_mul_f64 v[12:13], v[150:151], v[102:103]
	s_waitcnt vmcnt(3)
	v_mul_f64 v[14:15], v[146:147], v[122:123]
	s_waitcnt vmcnt(2)
	v_mul_f64 v[17:18], v[142:143], v[118:119]
	v_mul_f64 v[19:20], v[144:145], v[122:123]
	;; [unrolled: 1-line block ×4, first 2 shown]
	s_waitcnt vmcnt(1)
	v_mul_f64 v[25:26], v[126:127], v[78:79]
	v_mul_f64 v[27:28], v[124:125], v[78:79]
	s_waitcnt vmcnt(0)
	v_mul_f64 v[29:30], v[98:99], v[45:46]
	v_mul_f64 v[31:32], v[96:97], v[45:46]
	scratch_store_b128 off, v[76:79], off offset:336 ; 16-byte Folded Spill
	v_fma_f64 v[152:153], v[152:153], v[108:109], -v[4:5]
	v_fma_f64 v[33:34], v[164:165], v[112:113], -v[0:1]
	v_fma_f64 v[164:165], v[166:167], v[112:113], v[2:3]
	v_fma_f64 v[154:155], v[154:155], v[108:109], v[6:7]
	v_fma_f64 v[8:9], v[160:161], v[104:105], -v[8:9]
	v_fma_f64 v[10:11], v[162:163], v[104:105], v[10:11]
	v_fma_f64 v[148:149], v[148:149], v[100:101], -v[12:13]
	v_fma_f64 v[12:13], v[144:145], v[120:121], -v[14:15]
	v_fma_f64 v[140:141], v[140:141], v[116:117], -v[17:18]
	v_fma_f64 v[14:15], v[146:147], v[120:121], v[19:20]
	v_fma_f64 v[142:143], v[142:143], v[116:117], v[21:22]
	;; [unrolled: 1-line block ×3, first 2 shown]
	v_fma_f64 v[2:3], v[124:125], v[76:77], -v[25:26]
	v_fma_f64 v[6:7], v[126:127], v[76:77], v[27:28]
	v_fma_f64 v[0:1], v[96:97], v[43:44], -v[29:30]
	v_fma_f64 v[4:5], v[98:99], v[43:44], v[31:32]
	v_add_f64 v[17:18], v[33:34], v[152:153]
	v_add_f64 v[98:99], v[132:133], v[33:34]
	;; [unrolled: 1-line block ×3, first 2 shown]
	v_add_f64 v[124:125], v[164:165], -v[154:155]
	v_add_f64 v[126:127], v[134:135], v[164:165]
	v_add_f64 v[21:22], v[8:9], v[148:149]
	v_add_f64 v[33:34], v[33:34], -v[152:153]
	v_add_f64 v[25:26], v[12:13], v[140:141]
	v_add_f64 v[144:145], v[136:137], v[8:9]
	;; [unrolled: 1-line block ×9, first 2 shown]
	v_add_f64 v[162:163], v[10:11], -v[23:24]
	v_add_f64 v[164:165], v[8:9], -v[148:149]
	;; [unrolled: 1-line block ×6, first 2 shown]
	v_fma_f64 v[132:133], v[17:18], -0.5, v[132:133]
	v_add_f64 v[17:18], v[98:99], v[152:153]
	v_fma_f64 v[134:135], v[19:20], -0.5, v[134:135]
	v_add_f64 v[19:20], v[126:127], v[154:155]
	v_fma_f64 v[136:137], v[21:22], -0.5, v[136:137]
	v_fma_f64 v[168:169], v[25:26], -0.5, v[128:129]
	v_add_f64 v[21:22], v[144:145], v[148:149]
	v_fma_f64 v[130:131], v[27:28], -0.5, v[130:131]
	v_fma_f64 v[172:173], v[29:30], -0.5, v[138:139]
	v_add_f64 v[23:24], v[146:147], v[23:24]
	v_add_f64 v[25:26], v[150:151], v[140:141]
	v_fma_f64 v[8:9], v[31:32], -0.5, v[92:93]
	v_fma_f64 v[12:13], v[96:97], -0.5, v[94:95]
	v_add_f64 v[27:28], v[160:161], v[142:143]
	v_fma_f64 v[29:30], v[124:125], s[10:11], v[132:133]
	v_fma_f64 v[96:97], v[124:125], s[12:13], v[132:133]
	;; [unrolled: 1-line block ×4, first 2 shown]
	v_and_b32_e32 v33, 0xffff, v36
	v_fma_f64 v[124:125], v[162:163], s[10:11], v[136:137]
	v_fma_f64 v[128:129], v[162:163], s[12:13], v[136:137]
	;; [unrolled: 1-line block ×10, first 2 shown]
	v_mad_u16 v34, 0x75, v35, v39
	v_and_b32_e32 v35, 0xffff, v38
	v_mul_u32_u24_e32 v33, 0x75, v33
	v_mad_u16 v36, 0x75, v37, v40
	scratch_store_b128 off, v[43:46], off offset:320 ; 16-byte Folded Spill
	v_and_b32_e32 v34, 0xffff, v34
	v_mul_u32_u24_e32 v35, 0x75, v35
	scratch_store_b32 off, v36, off offset:264 ; 4-byte Folded Spill
	v_add_lshl_u32 v36, v33, v41, 4
	v_lshlrev_b32_e32 v33, 4, v34
	v_add_lshl_u32 v34, v35, v42, 4
	s_waitcnt_vscnt null, 0x0
	s_barrier
	buffer_gl0_inv
	ds_store_b128 v36, v[17:20]
	ds_store_b128 v36, v[29:32] offset:624
	scratch_store_b32 off, v36, off offset:288 ; 4-byte Folded Spill
	ds_store_b128 v36, v[96:99] offset:1248
	ds_store_b128 v34, v[25:28]
	ds_store_b128 v34, v[132:135] offset:624
	scratch_store_b32 off, v34, off offset:280 ; 4-byte Folded Spill
	ds_store_b128 v34, v[136:139] offset:1248
	ds_store_b128 v33, v[21:24]
	ds_store_b128 v33, v[124:127] offset:624
	scratch_store_b32 off, v33, off offset:272 ; 4-byte Folded Spill
	ds_store_b128 v33, v[128:131] offset:1248
	s_and_saveexec_b32 s1, vcc_lo
	s_cbranch_execz .LBB0_15
; %bb.14:
	v_add_f64 v[6:7], v[94:95], v[6:7]
	v_add_f64 v[17:18], v[92:93], v[2:3]
	v_mul_f64 v[10:11], v[10:11], s[10:11]
	v_mul_f64 v[14:15], v[14:15], s[10:11]
	s_delay_alu instid0(VALU_DEP_4) | instskip(NEXT) | instid1(VALU_DEP_4)
	v_add_f64 v[6:7], v[6:7], v[4:5]
	v_add_f64 v[4:5], v[17:18], v[0:1]
	s_delay_alu instid0(VALU_DEP_4) | instskip(SKIP_4) | instid1(VALU_DEP_1)
	v_add_f64 v[0:1], v[10:11], v[8:9]
	scratch_load_b32 v8, off, off offset:264 ; 4-byte Folded Reload
	v_add_f64 v[2:3], v[12:13], -v[14:15]
	s_waitcnt vmcnt(0)
	v_and_b32_e32 v8, 0xffff, v8
	v_lshlrev_b32_e32 v8, 4, v8
	ds_store_b128 v8, v[4:7]
	ds_store_b128 v8, v[0:3] offset:624
	ds_store_b128 v8, v[160:163] offset:1248
.LBB0_15:
	s_or_b32 exec_lo, exec_lo, s1
	v_mad_u64_u32 v[0:1], null, 0xa0, v182, s[2:3]
	scratch_store_b32 off, v182, off offset:8 ; 4-byte Folded Spill
	s_waitcnt lgkmcnt(0)
	s_waitcnt_vscnt null, 0x0
	s_barrier
	buffer_gl0_inv
	s_mov_b32 s24, 0xf8bb580b
	s_mov_b32 s18, 0x43842ef
	s_clause 0x3
	global_load_b128 v[128:131], v[0:1], off offset:1824
	global_load_b128 v[124:127], v[0:1], off offset:1840
	;; [unrolled: 1-line block ×4, first 2 shown]
	ds_load_b128 v[2:5], v255 offset:1872
	ds_load_b128 v[6:9], v255
	ds_load_b128 v[10:13], v255 offset:3744
	ds_load_b128 v[17:20], v255 offset:5616
	s_mov_b32 s22, 0xbb3a28a1
	s_mov_b32 s26, 0xfd768dbf
	;; [unrolled: 1-line block ×24, first 2 shown]
	s_waitcnt vmcnt(3) lgkmcnt(3)
	v_mul_f64 v[14:15], v[4:5], v[130:131]
	v_mul_f64 v[21:22], v[2:3], v[130:131]
	s_waitcnt vmcnt(2) lgkmcnt(1)
	v_mul_f64 v[23:24], v[12:13], v[126:127]
	s_delay_alu instid0(VALU_DEP_3) | instskip(SKIP_1) | instid1(VALU_DEP_4)
	v_fma_f64 v[14:15], v[2:3], v[128:129], -v[14:15]
	v_mul_f64 v[2:3], v[10:11], v[126:127]
	v_fma_f64 v[21:22], v[4:5], v[128:129], v[21:22]
	s_waitcnt vmcnt(1) lgkmcnt(0)
	v_mul_f64 v[4:5], v[19:20], v[94:95]
	v_fma_f64 v[172:173], v[10:11], v[124:125], -v[23:24]
	v_add_f64 v[217:218], v[6:7], v[14:15]
	v_fma_f64 v[174:175], v[12:13], v[124:125], v[2:3]
	v_mul_f64 v[2:3], v[17:18], v[94:95]
	v_fma_f64 v[176:177], v[17:18], v[92:93], -v[4:5]
	v_add_f64 v[215:216], v[8:9], v[21:22]
	s_delay_alu instid0(VALU_DEP_3)
	v_fma_f64 v[178:179], v[19:20], v[92:93], v[2:3]
	ds_load_b128 v[2:5], v255 offset:7488
	ds_load_b128 v[10:13], v255 offset:9360
	s_clause 0x1
	global_load_b128 v[136:139], v[0:1], off offset:1888
	global_load_b128 v[132:135], v[0:1], off offset:1904
	s_waitcnt vmcnt(2) lgkmcnt(1)
	v_mul_f64 v[17:18], v[4:5], v[98:99]
	s_delay_alu instid0(VALU_DEP_1) | instskip(SKIP_1) | instid1(VALU_DEP_1)
	v_fma_f64 v[180:181], v[2:3], v[96:97], -v[17:18]
	v_mul_f64 v[2:3], v[2:3], v[98:99]
	v_fma_f64 v[182:183], v[4:5], v[96:97], v[2:3]
	s_waitcnt vmcnt(1) lgkmcnt(0)
	v_mul_f64 v[2:3], v[12:13], v[138:139]
	s_delay_alu instid0(VALU_DEP_1) | instskip(SKIP_1) | instid1(VALU_DEP_1)
	v_fma_f64 v[184:185], v[10:11], v[136:137], -v[2:3]
	v_mul_f64 v[2:3], v[10:11], v[138:139]
	v_fma_f64 v[186:187], v[12:13], v[136:137], v[2:3]
	ds_load_b128 v[2:5], v255 offset:11232
	ds_load_b128 v[10:13], v255 offset:13104
	s_clause 0x1
	global_load_b128 v[140:143], v[0:1], off offset:1920
	global_load_b128 v[144:147], v[0:1], off offset:1936
	s_waitcnt vmcnt(2) lgkmcnt(1)
	v_mul_f64 v[17:18], v[4:5], v[134:135]
	s_delay_alu instid0(VALU_DEP_1) | instskip(SKIP_1) | instid1(VALU_DEP_2)
	v_fma_f64 v[188:189], v[2:3], v[132:133], -v[17:18]
	v_mul_f64 v[2:3], v[2:3], v[134:135]
	v_add_f64 v[80:81], v[184:185], -v[188:189]
	s_delay_alu instid0(VALU_DEP_2) | instskip(NEXT) | instid1(VALU_DEP_2)
	v_fma_f64 v[190:191], v[4:5], v[132:133], v[2:3]
	v_mul_f64 v[36:37], v[80:81], s[26:27]
	s_delay_alu instid0(VALU_DEP_2) | instskip(SKIP_1) | instid1(VALU_DEP_2)
	v_add_f64 v[76:77], v[186:187], -v[190:191]
	v_add_f64 v[82:83], v[186:187], v[190:191]
	v_mul_f64 v[78:79], v[76:77], s[26:27]
	v_mul_f64 v[44:45], v[76:77], s[28:29]
	s_waitcnt vmcnt(1) lgkmcnt(0)
	v_mul_f64 v[2:3], v[12:13], v[142:143]
	s_delay_alu instid0(VALU_DEP_1) | instskip(SKIP_1) | instid1(VALU_DEP_2)
	v_fma_f64 v[192:193], v[10:11], v[140:141], -v[2:3]
	v_mul_f64 v[2:3], v[10:11], v[142:143]
	v_add_f64 v[253:254], v[180:181], -v[192:193]
	s_delay_alu instid0(VALU_DEP_2)
	v_fma_f64 v[194:195], v[12:13], v[140:141], v[2:3]
	ds_load_b128 v[2:5], v255 offset:14976
	ds_load_b128 v[10:13], v255 offset:16848
	s_clause 0x1
	global_load_b128 v[148:151], v[0:1], off offset:1952
	global_load_b128 v[152:155], v[0:1], off offset:1968
	s_waitcnt vmcnt(2) lgkmcnt(1)
	v_mul_f64 v[17:18], v[4:5], v[146:147]
	v_add_f64 v[251:252], v[182:183], -v[194:195]
	s_delay_alu instid0(VALU_DEP_2) | instskip(SKIP_1) | instid1(VALU_DEP_3)
	v_fma_f64 v[196:197], v[2:3], v[144:145], -v[17:18]
	v_mul_f64 v[2:3], v[2:3], v[146:147]
	v_mul_f64 v[40:41], v[251:252], s[30:31]
	s_delay_alu instid0(VALU_DEP_3) | instskip(NEXT) | instid1(VALU_DEP_3)
	v_add_f64 v[249:250], v[176:177], -v[196:197]
	v_fma_f64 v[198:199], v[4:5], v[144:145], v[2:3]
	s_delay_alu instid0(VALU_DEP_2) | instskip(NEXT) | instid1(VALU_DEP_2)
	v_mul_f64 v[231:232], v[249:250], s[34:35]
	v_add_f64 v[247:248], v[178:179], -v[198:199]
	s_delay_alu instid0(VALU_DEP_1) | instskip(SKIP_2) | instid1(VALU_DEP_1)
	v_mul_f64 v[219:220], v[247:248], s[34:35]
	s_waitcnt vmcnt(1) lgkmcnt(0)
	v_mul_f64 v[0:1], v[12:13], v[150:151]
	v_fma_f64 v[200:201], v[10:11], v[148:149], -v[0:1]
	v_mul_f64 v[0:1], v[10:11], v[150:151]
	s_delay_alu instid0(VALU_DEP_1) | instskip(SKIP_4) | instid1(VALU_DEP_2)
	v_fma_f64 v[202:203], v[12:13], v[148:149], v[0:1]
	ds_load_b128 v[0:3], v255 offset:18720
	s_waitcnt vmcnt(0) lgkmcnt(0)
	v_mul_f64 v[4:5], v[0:1], v[154:155]
	v_add_f64 v[227:228], v[174:175], v[202:203]
	v_fma_f64 v[204:205], v[2:3], v[152:153], v[4:5]
	v_mul_f64 v[2:3], v[2:3], v[154:155]
	s_delay_alu instid0(VALU_DEP_2) | instskip(NEXT) | instid1(VALU_DEP_2)
	v_add_f64 v[168:169], v[21:22], v[204:205]
	v_fma_f64 v[206:207], v[0:1], v[152:153], -v[2:3]
	v_add_f64 v[0:1], v[21:22], -v[204:205]
	s_delay_alu instid0(VALU_DEP_2) | instskip(NEXT) | instid1(VALU_DEP_2)
	v_add_f64 v[17:18], v[14:15], v[206:207]
	v_mul_f64 v[2:3], v[0:1], s[24:25]
	v_mul_f64 v[4:5], v[0:1], s[20:21]
	;; [unrolled: 1-line block ×5, first 2 shown]
	v_fma_f64 v[19:20], v[17:18], s[16:17], -v[2:3]
	v_fma_f64 v[2:3], v[17:18], s[16:17], v[2:3]
	v_fma_f64 v[23:24], v[17:18], s[12:13], -v[4:5]
	v_fma_f64 v[4:5], v[17:18], s[12:13], v[4:5]
	;; [unrolled: 2-line block ×5, first 2 shown]
	v_add_f64 v[17:18], v[14:15], -v[206:207]
	v_add_f64 v[14:15], v[6:7], v[19:20]
	v_add_f64 v[2:3], v[6:7], v[2:3]
	;; [unrolled: 1-line block ×5, first 2 shown]
	v_add_f64 v[24:25], v[174:175], -v[202:203]
	v_add_f64 v[22:23], v[6:7], v[12:13]
	v_add_f64 v[38:39], v[6:7], v[0:1]
	v_mul_f64 v[29:30], v[17:18], s[24:25]
	v_mul_f64 v[34:35], v[17:18], s[20:21]
	v_mul_f64 v[164:165], v[17:18], s[18:19]
	v_mul_f64 v[166:167], v[17:18], s[22:23]
	v_mul_f64 v[17:18], v[17:18], s[26:27]
	scratch_store_b64 off, v[2:3], off offset:296 ; 8-byte Folded Spill
	v_mul_f64 v[225:226], v[24:25], s[20:21]
	v_fma_f64 v[170:171], v[168:169], s[16:17], v[29:30]
	v_fma_f64 v[29:30], v[168:169], s[16:17], -v[29:30]
	v_fma_f64 v[208:209], v[168:169], s[12:13], v[34:35]
	v_fma_f64 v[34:35], v[168:169], s[12:13], -v[34:35]
	v_fma_f64 v[223:224], v[168:169], s[2:3], v[17:18]
	v_fma_f64 v[211:212], v[168:169], s[14:15], v[164:165]
	v_fma_f64 v[164:165], v[168:169], s[14:15], -v[164:165]
	v_fma_f64 v[213:214], v[168:169], s[10:11], v[166:167]
	v_fma_f64 v[166:167], v[168:169], s[10:11], -v[166:167]
	v_fma_f64 v[168:169], v[168:169], s[2:3], -v[17:18]
	v_add_f64 v[18:19], v[6:7], v[32:33]
	v_add_f64 v[170:171], v[8:9], v[170:171]
	;; [unrolled: 1-line block ×4, first 2 shown]
	v_add_f64 v[26:27], v[172:173], -v[200:201]
	v_add_f64 v[32:33], v[8:9], v[223:224]
	v_add_f64 v[223:224], v[172:173], v[200:201]
	;; [unrolled: 1-line block ×11, first 2 shown]
	scratch_store_b64 off, v[2:3], off offset:304 ; 8-byte Folded Spill
	v_mul_f64 v[2:3], v[247:248], s[18:19]
	v_mul_f64 v[229:230], v[26:27], s[20:21]
	;; [unrolled: 1-line block ×3, first 2 shown]
	v_fma_f64 v[0:1], v[223:224], s[12:13], -v[225:226]
	s_mov_b32 s21, 0x3fed1bb4
	v_fma_f64 v[46:47], v[213:214], s[16:17], -v[44:45]
	v_fma_f64 v[44:45], v[213:214], s[16:17], v[44:45]
	s_delay_alu instid0(VALU_DEP_3) | instskip(SKIP_1) | instid1(VALU_DEP_1)
	v_add_f64 v[4:5], v[0:1], v[14:15]
	v_fma_f64 v[0:1], v[227:228], s[12:13], v[229:230]
	v_add_f64 v[8:9], v[0:1], v[170:171]
	v_add_f64 v[0:1], v[176:177], v[196:197]
	s_delay_alu instid0(VALU_DEP_1) | instskip(NEXT) | instid1(VALU_DEP_1)
	v_fma_f64 v[6:7], v[0:1], s[14:15], -v[2:3]
	v_add_f64 v[12:13], v[6:7], v[4:5]
	v_add_f64 v[4:5], v[178:179], v[198:199]
	v_mul_f64 v[6:7], v[249:250], s[18:19]
	s_delay_alu instid0(VALU_DEP_2) | instskip(NEXT) | instid1(VALU_DEP_2)
	v_fma_f64 v[233:234], v[4:5], s[2:3], v[231:232]
	v_fma_f64 v[10:11], v[4:5], s[14:15], v[6:7]
	s_delay_alu instid0(VALU_DEP_1) | instskip(SKIP_2) | instid1(VALU_DEP_2)
	v_add_f64 v[164:165], v[10:11], v[8:9]
	v_add_f64 v[8:9], v[180:181], v[192:193]
	v_mul_f64 v[10:11], v[251:252], s[22:23]
	v_fma_f64 v[42:43], v[8:9], s[14:15], -v[40:41]
	s_delay_alu instid0(VALU_DEP_2) | instskip(SKIP_1) | instid1(VALU_DEP_2)
	v_fma_f64 v[14:15], v[8:9], s[10:11], -v[10:11]
	v_fma_f64 v[40:41], v[8:9], s[14:15], v[40:41]
	v_add_f64 v[166:167], v[14:15], v[12:13]
	v_add_f64 v[12:13], v[182:183], v[194:195]
	v_mul_f64 v[14:15], v[253:254], s[22:23]
	s_delay_alu instid0(VALU_DEP_1) | instskip(NEXT) | instid1(VALU_DEP_1)
	v_fma_f64 v[168:169], v[12:13], s[10:11], v[14:15]
	v_add_f64 v[164:165], v[168:169], v[164:165]
	v_fma_f64 v[168:169], v[213:214], s[2:3], -v[78:79]
	s_delay_alu instid0(VALU_DEP_1) | instskip(SKIP_1) | instid1(VALU_DEP_1)
	v_add_f64 v[168:169], v[168:169], v[166:167]
	v_fma_f64 v[166:167], v[82:83], s[2:3], v[36:37]
	v_add_f64 v[170:171], v[166:167], v[164:165]
	v_mul_f64 v[164:165], v[24:25], s[22:23]
	s_delay_alu instid0(VALU_DEP_1) | instskip(NEXT) | instid1(VALU_DEP_1)
	v_fma_f64 v[166:167], v[223:224], s[10:11], -v[164:165]
	v_add_f64 v[166:167], v[166:167], v[239:240]
	v_fma_f64 v[239:240], v[227:228], s[10:11], v[245:246]
	s_delay_alu instid0(VALU_DEP_1) | instskip(SKIP_1) | instid1(VALU_DEP_2)
	v_add_f64 v[239:240], v[239:240], v[241:242]
	v_fma_f64 v[241:242], v[0:1], s[2:3], -v[219:220]
	v_add_f64 v[233:234], v[233:234], v[239:240]
	s_delay_alu instid0(VALU_DEP_2) | instskip(NEXT) | instid1(VALU_DEP_1)
	v_add_f64 v[166:167], v[241:242], v[166:167]
	v_add_f64 v[42:43], v[42:43], v[166:167]
	v_mul_f64 v[166:167], v[253:254], s[30:31]
	s_delay_alu instid0(VALU_DEP_1) | instskip(NEXT) | instid1(VALU_DEP_1)
	v_fma_f64 v[239:240], v[12:13], s[14:15], v[166:167]
	v_add_f64 v[233:234], v[239:240], v[233:234]
	s_delay_alu instid0(VALU_DEP_4) | instskip(SKIP_1) | instid1(VALU_DEP_1)
	v_add_f64 v[239:240], v[46:47], v[42:43]
	v_mul_f64 v[42:43], v[80:81], s[28:29]
	v_fma_f64 v[46:47], v[82:83], s[16:17], v[42:43]
	v_fma_f64 v[42:43], v[82:83], s[16:17], -v[42:43]
	s_delay_alu instid0(VALU_DEP_2) | instskip(SKIP_2) | instid1(VALU_DEP_2)
	v_add_f64 v[241:242], v[46:47], v[233:234]
	v_fma_f64 v[46:47], v[223:224], s[10:11], v[164:165]
	v_fma_f64 v[164:165], v[227:228], s[10:11], -v[245:246]
	v_add_f64 v[46:47], v[46:47], v[243:244]
	s_delay_alu instid0(VALU_DEP_2) | instskip(SKIP_2) | instid1(VALU_DEP_2)
	v_add_f64 v[34:35], v[164:165], v[34:35]
	v_fma_f64 v[164:165], v[0:1], s[2:3], v[219:220]
	v_mul_f64 v[243:244], v[76:77], s[22:23]
	v_add_f64 v[46:47], v[164:165], v[46:47]
	v_fma_f64 v[164:165], v[4:5], s[2:3], -v[231:232]
	s_delay_alu instid0(VALU_DEP_2) | instskip(NEXT) | instid1(VALU_DEP_2)
	v_add_f64 v[40:41], v[40:41], v[46:47]
	v_add_f64 v[34:35], v[164:165], v[34:35]
	v_fma_f64 v[46:47], v[12:13], s[14:15], -v[166:167]
	s_delay_alu instid0(VALU_DEP_3) | instskip(NEXT) | instid1(VALU_DEP_2)
	v_add_f64 v[164:165], v[44:45], v[40:41]
	v_add_f64 v[34:35], v[46:47], v[34:35]
	v_mul_f64 v[46:47], v[247:248], s[20:21]
	s_delay_alu instid0(VALU_DEP_2) | instskip(SKIP_2) | instid1(VALU_DEP_4)
	v_add_f64 v[166:167], v[42:43], v[34:35]
	v_mul_f64 v[34:35], v[24:25], s[34:35]
	v_mul_f64 v[42:43], v[26:27], s[34:35]
	v_fma_f64 v[219:220], v[0:1], s[12:13], -v[46:47]
	s_delay_alu instid0(VALU_DEP_3) | instskip(NEXT) | instid1(VALU_DEP_3)
	v_fma_f64 v[40:41], v[223:224], s[2:3], -v[34:35]
	v_fma_f64 v[44:45], v[227:228], s[2:3], v[42:43]
	v_fma_f64 v[34:35], v[223:224], s[2:3], v[34:35]
	v_fma_f64 v[42:43], v[227:228], s[2:3], -v[42:43]
	s_delay_alu instid0(VALU_DEP_4) | instskip(NEXT) | instid1(VALU_DEP_4)
	v_add_f64 v[40:41], v[40:41], v[237:238]
	v_add_f64 v[44:45], v[44:45], v[235:236]
	s_delay_alu instid0(VALU_DEP_4) | instskip(NEXT) | instid1(VALU_DEP_4)
	v_add_f64 v[34:35], v[34:35], v[211:212]
	v_add_f64 v[42:43], v[42:43], v[208:209]
	s_delay_alu instid0(VALU_DEP_4) | instskip(SKIP_1) | instid1(VALU_DEP_1)
	v_add_f64 v[40:41], v[219:220], v[40:41]
	v_mul_f64 v[219:220], v[249:250], s[20:21]
	v_fma_f64 v[231:232], v[4:5], s[12:13], v[219:220]
	s_delay_alu instid0(VALU_DEP_1) | instskip(SKIP_1) | instid1(VALU_DEP_1)
	v_add_f64 v[44:45], v[231:232], v[44:45]
	v_mul_f64 v[231:232], v[251:252], s[24:25]
	v_fma_f64 v[233:234], v[8:9], s[16:17], -v[231:232]
	s_delay_alu instid0(VALU_DEP_1) | instskip(SKIP_1) | instid1(VALU_DEP_1)
	v_add_f64 v[40:41], v[233:234], v[40:41]
	v_mul_f64 v[233:234], v[253:254], s[24:25]
	v_fma_f64 v[235:236], v[12:13], s[16:17], v[233:234]
	s_delay_alu instid0(VALU_DEP_1) | instskip(SKIP_1) | instid1(VALU_DEP_1)
	v_add_f64 v[44:45], v[235:236], v[44:45]
	v_fma_f64 v[235:236], v[213:214], s[10:11], -v[243:244]
	v_add_f64 v[235:236], v[235:236], v[40:41]
	v_mul_f64 v[40:41], v[80:81], s[22:23]
	s_delay_alu instid0(VALU_DEP_1) | instskip(SKIP_1) | instid1(VALU_DEP_2)
	v_fma_f64 v[237:238], v[82:83], s[10:11], v[40:41]
	v_fma_f64 v[40:41], v[82:83], s[10:11], -v[40:41]
	v_add_f64 v[237:238], v[237:238], v[44:45]
	v_fma_f64 v[44:45], v[0:1], s[12:13], v[46:47]
	s_delay_alu instid0(VALU_DEP_1) | instskip(SKIP_3) | instid1(VALU_DEP_3)
	v_add_f64 v[34:35], v[44:45], v[34:35]
	v_fma_f64 v[44:45], v[4:5], s[12:13], -v[219:220]
	v_mul_f64 v[219:220], v[76:77], s[20:21]
	v_mul_f64 v[76:77], v[76:77], s[18:19]
	v_add_f64 v[42:43], v[44:45], v[42:43]
	v_fma_f64 v[44:45], v[8:9], s[16:17], v[231:232]
	v_mul_f64 v[231:232], v[80:81], s[20:21]
	v_mul_f64 v[80:81], v[80:81], s[18:19]
	s_delay_alu instid0(VALU_DEP_3) | instskip(SKIP_1) | instid1(VALU_DEP_1)
	v_add_f64 v[34:35], v[44:45], v[34:35]
	v_fma_f64 v[44:45], v[12:13], s[16:17], -v[233:234]
	v_add_f64 v[42:43], v[44:45], v[42:43]
	v_fma_f64 v[44:45], v[213:214], s[10:11], v[243:244]
	s_delay_alu instid0(VALU_DEP_2) | instskip(NEXT) | instid1(VALU_DEP_2)
	v_add_f64 v[245:246], v[40:41], v[42:43]
	v_add_f64 v[243:244], v[44:45], v[34:35]
	v_mul_f64 v[34:35], v[24:25], s[30:31]
	s_delay_alu instid0(VALU_DEP_1) | instskip(SKIP_1) | instid1(VALU_DEP_2)
	v_fma_f64 v[40:41], v[223:224], s[14:15], -v[34:35]
	v_fma_f64 v[34:35], v[223:224], s[14:15], v[34:35]
	v_add_f64 v[30:31], v[40:41], v[30:31]
	v_mul_f64 v[40:41], v[26:27], s[30:31]
	s_delay_alu instid0(VALU_DEP_3) | instskip(NEXT) | instid1(VALU_DEP_2)
	v_add_f64 v[22:23], v[34:35], v[22:23]
	v_fma_f64 v[42:43], v[227:228], s[14:15], v[40:41]
	v_fma_f64 v[34:35], v[227:228], s[14:15], -v[40:41]
	v_fma_f64 v[40:41], v[82:83], s[12:13], -v[231:232]
	s_delay_alu instid0(VALU_DEP_3) | instskip(SKIP_1) | instid1(VALU_DEP_4)
	v_add_f64 v[28:29], v[42:43], v[28:29]
	v_mul_f64 v[42:43], v[247:248], s[24:25]
	v_add_f64 v[20:21], v[34:35], v[20:21]
	s_delay_alu instid0(VALU_DEP_2) | instskip(SKIP_2) | instid1(VALU_DEP_3)
	v_fma_f64 v[44:45], v[0:1], s[16:17], -v[42:43]
	v_fma_f64 v[34:35], v[0:1], s[16:17], v[42:43]
	v_mul_f64 v[42:43], v[249:250], s[22:23]
	v_add_f64 v[30:31], v[44:45], v[30:31]
	v_mul_f64 v[44:45], v[249:250], s[24:25]
	s_delay_alu instid0(VALU_DEP_4) | instskip(NEXT) | instid1(VALU_DEP_2)
	v_add_f64 v[22:23], v[34:35], v[22:23]
	v_fma_f64 v[46:47], v[4:5], s[16:17], v[44:45]
	v_fma_f64 v[34:35], v[4:5], s[16:17], -v[44:45]
	v_mul_f64 v[44:45], v[251:252], s[20:21]
	s_delay_alu instid0(VALU_DEP_3) | instskip(SKIP_1) | instid1(VALU_DEP_4)
	v_add_f64 v[28:29], v[46:47], v[28:29]
	v_mul_f64 v[46:47], v[251:252], s[26:27]
	v_add_f64 v[20:21], v[34:35], v[20:21]
	s_delay_alu instid0(VALU_DEP_2) | instskip(SKIP_2) | instid1(VALU_DEP_3)
	v_fma_f64 v[208:209], v[8:9], s[2:3], -v[46:47]
	v_fma_f64 v[34:35], v[8:9], s[2:3], v[46:47]
	v_mul_f64 v[46:47], v[253:254], s[20:21]
	v_add_f64 v[30:31], v[208:209], v[30:31]
	v_mul_f64 v[208:209], v[253:254], s[26:27]
	s_delay_alu instid0(VALU_DEP_4) | instskip(NEXT) | instid1(VALU_DEP_2)
	v_add_f64 v[22:23], v[34:35], v[22:23]
	v_fma_f64 v[34:35], v[12:13], s[2:3], -v[208:209]
	v_fma_f64 v[211:212], v[12:13], s[2:3], v[208:209]
	s_delay_alu instid0(VALU_DEP_2) | instskip(SKIP_1) | instid1(VALU_DEP_3)
	v_add_f64 v[34:35], v[34:35], v[20:21]
	v_fma_f64 v[20:21], v[213:214], s[12:13], v[219:220]
	v_add_f64 v[211:212], v[211:212], v[28:29]
	v_fma_f64 v[28:29], v[213:214], s[12:13], -v[219:220]
	s_delay_alu instid0(VALU_DEP_3)
	v_add_f64 v[20:21], v[20:21], v[22:23]
	v_add_f64 v[22:23], v[40:41], v[34:35]
	v_mul_f64 v[34:35], v[24:25], s[28:29]
	v_mul_f64 v[40:41], v[26:27], s[28:29]
	v_add_f64 v[28:29], v[28:29], v[30:31]
	v_fma_f64 v[30:31], v[82:83], s[12:13], v[231:232]
	s_delay_alu instid0(VALU_DEP_4) | instskip(NEXT) | instid1(VALU_DEP_2)
	v_fma_f64 v[24:25], v[223:224], s[16:17], -v[34:35]
	v_add_f64 v[30:31], v[30:31], v[211:212]
	s_delay_alu instid0(VALU_DEP_2) | instskip(SKIP_1) | instid1(VALU_DEP_1)
	v_add_f64 v[17:18], v[24:25], v[18:19]
	v_fma_f64 v[24:25], v[227:228], s[16:17], v[40:41]
	v_add_f64 v[24:25], v[24:25], v[32:33]
	v_mul_f64 v[32:33], v[247:248], s[22:23]
	s_delay_alu instid0(VALU_DEP_1)
	v_fma_f64 v[26:27], v[0:1], s[10:11], -v[32:33]
	v_fma_f64 v[32:33], v[0:1], s[10:11], v[32:33]
	v_fma_f64 v[0:1], v[0:1], s[14:15], v[2:3]
	v_fma_f64 v[2:3], v[4:5], s[14:15], -v[6:7]
	scratch_load_b64 v[6:7], off, off offset:304 ; 8-byte Folded Reload
	v_add_f64 v[17:18], v[26:27], v[17:18]
	v_fma_f64 v[26:27], v[4:5], s[10:11], v[42:43]
	s_delay_alu instid0(VALU_DEP_1) | instskip(SKIP_1) | instid1(VALU_DEP_1)
	v_add_f64 v[24:25], v[26:27], v[24:25]
	v_fma_f64 v[26:27], v[8:9], s[12:13], -v[44:45]
	v_add_f64 v[17:18], v[26:27], v[17:18]
	v_fma_f64 v[26:27], v[12:13], s[12:13], v[46:47]
	s_delay_alu instid0(VALU_DEP_1) | instskip(SKIP_1) | instid1(VALU_DEP_1)
	v_add_f64 v[26:27], v[26:27], v[24:25]
	v_fma_f64 v[24:25], v[213:214], s[14:15], -v[76:77]
	v_add_f64 v[24:25], v[24:25], v[17:18]
	v_fma_f64 v[17:18], v[82:83], s[14:15], v[80:81]
	s_delay_alu instid0(VALU_DEP_1) | instskip(SKIP_2) | instid1(VALU_DEP_2)
	v_add_f64 v[26:27], v[17:18], v[26:27]
	v_fma_f64 v[17:18], v[223:224], s[16:17], v[34:35]
	v_fma_f64 v[34:35], v[227:228], s[16:17], -v[40:41]
	v_add_f64 v[17:18], v[17:18], v[38:39]
	s_delay_alu instid0(VALU_DEP_2) | instskip(SKIP_1) | instid1(VALU_DEP_3)
	v_add_f64 v[34:35], v[34:35], v[221:222]
	v_fma_f64 v[38:39], v[82:83], s[14:15], -v[80:81]
	v_add_f64 v[17:18], v[32:33], v[17:18]
	v_fma_f64 v[32:33], v[4:5], s[10:11], -v[42:43]
	scratch_load_b64 v[4:5], off, off offset:296 ; 8-byte Folded Reload
	v_add_f64 v[32:33], v[32:33], v[34:35]
	v_fma_f64 v[34:35], v[8:9], s[12:13], v[44:45]
	v_fma_f64 v[8:9], v[8:9], s[10:11], v[10:11]
	v_fma_f64 v[10:11], v[12:13], s[10:11], -v[14:15]
	s_delay_alu instid0(VALU_DEP_3) | instskip(SKIP_1) | instid1(VALU_DEP_1)
	v_add_f64 v[17:18], v[34:35], v[17:18]
	v_fma_f64 v[34:35], v[12:13], s[12:13], -v[46:47]
	v_add_f64 v[34:35], v[34:35], v[32:33]
	v_fma_f64 v[32:33], v[213:214], s[14:15], v[76:77]
	s_delay_alu instid0(VALU_DEP_2) | instskip(NEXT) | instid1(VALU_DEP_2)
	v_add_f64 v[34:35], v[38:39], v[34:35]
	v_add_f64 v[32:33], v[32:33], v[17:18]
	;; [unrolled: 1-line block ×4, first 2 shown]
	s_delay_alu instid0(VALU_DEP_2) | instskip(NEXT) | instid1(VALU_DEP_2)
	v_add_f64 v[17:18], v[17:18], v[176:177]
	v_add_f64 v[38:39], v[38:39], v[178:179]
	s_delay_alu instid0(VALU_DEP_2) | instskip(NEXT) | instid1(VALU_DEP_2)
	v_add_f64 v[17:18], v[17:18], v[180:181]
	v_add_f64 v[38:39], v[38:39], v[182:183]
	;; [unrolled: 3-line block ×8, first 2 shown]
	v_fma_f64 v[17:18], v[223:224], s[12:13], v[225:226]
	v_fma_f64 v[38:39], v[227:228], s[12:13], -v[229:230]
	ds_store_b128 v255, v[239:242] offset:3744
	ds_store_b128 v255, v[235:238] offset:5616
	;; [unrolled: 1-line block ×8, first 2 shown]
	ds_store_b128 v255, v[176:179]
	s_waitcnt vmcnt(0)
	v_add_f64 v[4:5], v[17:18], v[4:5]
	v_add_f64 v[6:7], v[38:39], v[6:7]
	s_delay_alu instid0(VALU_DEP_2) | instskip(NEXT) | instid1(VALU_DEP_2)
	v_add_f64 v[0:1], v[0:1], v[4:5]
	v_add_f64 v[2:3], v[2:3], v[6:7]
	v_fma_f64 v[4:5], v[213:214], s[2:3], v[78:79]
	v_fma_f64 v[6:7], v[82:83], s[2:3], -v[36:37]
	s_delay_alu instid0(VALU_DEP_4) | instskip(NEXT) | instid1(VALU_DEP_4)
	v_add_f64 v[0:1], v[8:9], v[0:1]
	v_add_f64 v[2:3], v[10:11], v[2:3]
	s_delay_alu instid0(VALU_DEP_2) | instskip(NEXT) | instid1(VALU_DEP_2)
	v_add_f64 v[172:173], v[4:5], v[0:1]
	v_add_f64 v[174:175], v[6:7], v[2:3]
	v_add_co_u32 v0, s1, 0x5000, v210
	s_delay_alu instid0(VALU_DEP_1) | instskip(SKIP_1) | instid1(VALU_DEP_1)
	v_add_co_ci_u32_e64 v1, s1, 0, v16, s1
	v_add_co_u32 v4, s1, 0x6000, v210
	v_add_co_ci_u32_e64 v5, s1, 0, v16, s1
	ds_store_b128 v255, v[164:167] offset:16848
	ds_store_b128 v255, v[172:175] offset:18720
	s_waitcnt lgkmcnt(0)
	s_waitcnt_vscnt null, 0x0
	s_barrier
	buffer_gl0_inv
	s_clause 0x1
	global_load_b128 v[0:3], v[0:1], off offset:112
	global_load_b128 v[4:7], v[4:5], off offset:2880
	ds_load_b128 v[8:11], v255
	ds_load_b128 v[12:15], v255 offset:1872
	s_waitcnt vmcnt(1) lgkmcnt(1)
	v_mul_f64 v[17:18], v[10:11], v[2:3]
	v_mul_f64 v[2:3], v[8:9], v[2:3]
	s_delay_alu instid0(VALU_DEP_2) | instskip(NEXT) | instid1(VALU_DEP_2)
	v_fma_f64 v[8:9], v[8:9], v[0:1], -v[17:18]
	v_fma_f64 v[10:11], v[10:11], v[0:1], v[2:3]
	ds_load_b128 v[0:3], v255 offset:6864
	ds_load_b128 v[17:20], v255 offset:3744
	s_waitcnt vmcnt(0) lgkmcnt(1)
	v_mul_f64 v[21:22], v[2:3], v[6:7]
	v_mul_f64 v[6:7], v[0:1], v[6:7]
	s_delay_alu instid0(VALU_DEP_2) | instskip(NEXT) | instid1(VALU_DEP_2)
	v_fma_f64 v[21:22], v[0:1], v[4:5], -v[21:22]
	v_fma_f64 v[23:24], v[2:3], v[4:5], v[6:7]
	v_add_co_u32 v4, s1, 0x8000, v210
	s_delay_alu instid0(VALU_DEP_1)
	v_add_co_ci_u32_e64 v5, s1, 0, v16, s1
	s_clause 0x1
	global_load_b128 v[0:3], v[4:5], off offset:1552
	global_load_b128 v[4:7], v[4:5], off offset:3424
	ds_load_b128 v[25:28], v255 offset:13728
	ds_load_b128 v[29:32], v255 offset:15600
	s_waitcnt vmcnt(1) lgkmcnt(1)
	v_mul_f64 v[33:34], v[27:28], v[2:3]
	v_mul_f64 v[2:3], v[25:26], v[2:3]
	s_delay_alu instid0(VALU_DEP_2) | instskip(NEXT) | instid1(VALU_DEP_2)
	v_fma_f64 v[25:26], v[25:26], v[0:1], -v[33:34]
	v_fma_f64 v[27:28], v[27:28], v[0:1], v[2:3]
	v_add_co_u32 v0, s1, 0x5070, v210
	s_delay_alu instid0(VALU_DEP_1)
	v_add_co_ci_u32_e64 v1, s1, 0, v16, s1
	s_clause 0x1
	global_load_b128 v[168:171], v[0:1], off offset:1872
	global_load_b128 v[176:179], v[0:1], off offset:3744
	s_waitcnt vmcnt(1)
	v_mul_f64 v[2:3], v[14:15], v[170:171]
	v_mul_f64 v[33:34], v[12:13], v[170:171]
	s_delay_alu instid0(VALU_DEP_2) | instskip(SKIP_1) | instid1(VALU_DEP_1)
	v_fma_f64 v[12:13], v[12:13], v[168:169], -v[2:3]
	v_add_co_u32 v2, s1, 0x7000, v210
	v_add_co_ci_u32_e64 v3, s1, 0, v16, s1
	s_delay_alu instid0(VALU_DEP_4)
	v_fma_f64 v[14:15], v[14:15], v[168:169], v[33:34]
	s_clause 0x1
	global_load_b128 v[168:171], v[2:3], off offset:656
	global_load_b128 v[180:183], v[2:3], off offset:2528
	ds_load_b128 v[184:187], v255 offset:8736
	ds_load_b128 v[188:191], v255 offset:10608
	s_waitcnt vmcnt(1) lgkmcnt(1)
	v_mul_f64 v[2:3], v[186:187], v[170:171]
	v_mul_f64 v[33:34], v[184:185], v[170:171]
	s_delay_alu instid0(VALU_DEP_2) | instskip(SKIP_2) | instid1(VALU_DEP_4)
	v_fma_f64 v[184:185], v[184:185], v[168:169], -v[2:3]
	v_mul_f64 v[2:3], v[31:32], v[6:7]
	v_mul_f64 v[6:7], v[29:30], v[6:7]
	v_fma_f64 v[186:187], v[186:187], v[168:169], v[33:34]
	s_delay_alu instid0(VALU_DEP_3) | instskip(NEXT) | instid1(VALU_DEP_3)
	v_fma_f64 v[2:3], v[29:30], v[4:5], -v[2:3]
	v_fma_f64 v[4:5], v[31:32], v[4:5], v[6:7]
	v_mul_f64 v[6:7], v[19:20], v[178:179]
	v_mul_f64 v[29:30], v[17:18], v[178:179]
	s_waitcnt vmcnt(0) lgkmcnt(0)
	v_mul_f64 v[31:32], v[188:189], v[182:183]
	s_delay_alu instid0(VALU_DEP_3) | instskip(SKIP_1) | instid1(VALU_DEP_4)
	v_fma_f64 v[17:18], v[17:18], v[176:177], -v[6:7]
	v_mul_f64 v[6:7], v[190:191], v[182:183]
	v_fma_f64 v[19:20], v[19:20], v[176:177], v[29:30]
	ds_load_b128 v[176:179], v255 offset:17472
	v_fma_f64 v[31:32], v[190:191], v[180:181], v[31:32]
	v_fma_f64 v[29:30], v[188:189], v[180:181], -v[6:7]
	v_add_co_u32 v6, s1, 0x9000, v210
	s_delay_alu instid0(VALU_DEP_1) | instskip(SKIP_4) | instid1(VALU_DEP_2)
	v_add_co_ci_u32_e64 v7, s1, 0, v16, s1
	global_load_b128 v[168:171], v[6:7], off offset:1200
	s_waitcnt vmcnt(0) lgkmcnt(0)
	v_mul_f64 v[6:7], v[178:179], v[170:171]
	v_mul_f64 v[33:34], v[176:177], v[170:171]
	v_fma_f64 v[176:177], v[176:177], v[168:169], -v[6:7]
	s_delay_alu instid0(VALU_DEP_2)
	v_fma_f64 v[178:179], v[178:179], v[168:169], v[33:34]
	ds_store_b128 v255, v[8:11]
	ds_store_b128 v255, v[12:15] offset:1872
	ds_store_b128 v255, v[25:28] offset:13728
	;; [unrolled: 1-line block ×8, first 2 shown]
	s_and_saveexec_b32 s2, vcc_lo
	s_cbranch_execz .LBB0_17
; %bb.16:
	v_add_co_u32 v2, s1, 0x1000, v0
	s_delay_alu instid0(VALU_DEP_1) | instskip(SKIP_1) | instid1(VALU_DEP_1)
	v_add_co_ci_u32_e64 v3, s1, 0, v1, s1
	v_add_co_u32 v4, s1, 0x3000, v0
	v_add_co_ci_u32_e64 v5, s1, 0, v1, s1
	v_add_co_u32 v8, s1, 0x4000, v0
	s_delay_alu instid0(VALU_DEP_1)
	v_add_co_ci_u32_e64 v9, s1, 0, v1, s1
	s_clause 0x2
	global_load_b128 v[0:3], v[2:3], off offset:1520
	global_load_b128 v[4:7], v[4:5], off offset:192
	;; [unrolled: 1-line block ×3, first 2 shown]
	ds_load_b128 v[12:15], v255 offset:5616
	ds_load_b128 v[16:19], v255 offset:12480
	;; [unrolled: 1-line block ×3, first 2 shown]
	s_waitcnt vmcnt(2) lgkmcnt(2)
	v_mul_f64 v[24:25], v[14:15], v[2:3]
	v_mul_f64 v[2:3], v[12:13], v[2:3]
	s_waitcnt vmcnt(1) lgkmcnt(1)
	v_mul_f64 v[26:27], v[18:19], v[6:7]
	v_mul_f64 v[6:7], v[16:17], v[6:7]
	s_waitcnt vmcnt(0) lgkmcnt(0)
	v_mul_f64 v[28:29], v[22:23], v[10:11]
	v_mul_f64 v[30:31], v[20:21], v[10:11]
	v_fma_f64 v[10:11], v[12:13], v[0:1], -v[24:25]
	v_fma_f64 v[12:13], v[14:15], v[0:1], v[2:3]
	v_fma_f64 v[0:1], v[16:17], v[4:5], -v[26:27]
	v_fma_f64 v[2:3], v[18:19], v[4:5], v[6:7]
	;; [unrolled: 2-line block ×3, first 2 shown]
	ds_store_b128 v255, v[10:13] offset:5616
	ds_store_b128 v255, v[0:3] offset:12480
	;; [unrolled: 1-line block ×3, first 2 shown]
.LBB0_17:
	s_or_b32 exec_lo, exec_lo, s2
	s_waitcnt lgkmcnt(0)
	s_barrier
	buffer_gl0_inv
	ds_load_b128 v[180:183], v255
	ds_load_b128 v[192:195], v255 offset:1872
	ds_load_b128 v[168:171], v255 offset:13728
	;; [unrolled: 1-line block ×8, first 2 shown]
	s_and_saveexec_b32 s1, vcc_lo
	s_cbranch_execz .LBB0_19
; %bb.18:
	ds_load_b128 v[164:167], v255 offset:5616
	ds_load_b128 v[172:175], v255 offset:12480
	;; [unrolled: 1-line block ×3, first 2 shown]
.LBB0_19:
	s_or_b32 exec_lo, exec_lo, s1
	s_waitcnt lgkmcnt(4)
	v_add_f64 v[0:1], v[180:181], v[204:205]
	v_add_f64 v[4:5], v[204:205], v[168:169]
	v_add_f64 v[10:11], v[204:205], -v[168:169]
	s_waitcnt lgkmcnt(2)
	v_add_f64 v[12:13], v[200:201], v[188:189]
	v_add_f64 v[18:19], v[200:201], -v[188:189]
	s_waitcnt lgkmcnt(0)
	v_add_f64 v[20:21], v[184:185], v[176:177]
	v_add_f64 v[26:27], v[184:185], -v[176:177]
	v_add_f64 v[8:9], v[206:207], -v[170:171]
	s_mov_b32 s2, 0xe8584caa
	s_mov_b32 s3, 0xbfebb67a
	;; [unrolled: 1-line block ×4, first 2 shown]
	s_barrier
	buffer_gl0_inv
	v_add_f64 v[2:3], v[182:183], v[206:207]
	v_add_f64 v[6:7], v[206:207], v[170:171]
	;; [unrolled: 1-line block ×3, first 2 shown]
	v_add_f64 v[16:17], v[202:203], -v[190:191]
	v_add_f64 v[22:23], v[186:187], v[178:179]
	v_add_f64 v[24:25], v[186:187], -v[178:179]
	v_add_f64 v[28:29], v[172:173], v[160:161]
	v_add_f64 v[30:31], v[174:175], v[162:163]
	v_add_f64 v[32:33], v[174:175], -v[162:163]
	v_add_f64 v[34:35], v[172:173], -v[160:161]
	v_add_f64 v[168:169], v[0:1], v[168:169]
	v_add_f64 v[0:1], v[192:193], v[200:201]
	;; [unrolled: 1-line block ×4, first 2 shown]
	s_delay_alu instid0(VALU_DEP_3) | instskip(SKIP_1) | instid1(VALU_DEP_3)
	v_add_f64 v[188:189], v[0:1], v[188:189]
	v_add_f64 v[0:1], v[196:197], v[184:185]
	;; [unrolled: 1-line block ×4, first 2 shown]
	s_delay_alu instid0(VALU_DEP_3) | instskip(SKIP_1) | instid1(VALU_DEP_3)
	v_add_f64 v[176:177], v[0:1], v[176:177]
	v_add_f64 v[0:1], v[164:165], v[172:173]
	;; [unrolled: 1-line block ×4, first 2 shown]
	s_delay_alu instid0(VALU_DEP_3)
	v_add_f64 v[184:185], v[0:1], v[160:161]
	v_fma_f64 v[0:1], v[4:5], -0.5, v[180:181]
	v_fma_f64 v[4:5], v[12:13], -0.5, v[192:193]
	v_fma_f64 v[12:13], v[20:21], -0.5, v[196:197]
	v_fma_f64 v[20:21], v[28:29], -0.5, v[164:165]
	v_add_f64 v[186:187], v[2:3], v[162:163]
	v_fma_f64 v[2:3], v[6:7], -0.5, v[182:183]
	v_fma_f64 v[6:7], v[14:15], -0.5, v[194:195]
	;; [unrolled: 1-line block ×4, first 2 shown]
	v_fma_f64 v[196:197], v[8:9], s[2:3], v[0:1]
	v_fma_f64 v[192:193], v[8:9], s[10:11], v[0:1]
	scratch_load_b32 v0, off, off offset:232 ; 4-byte Folded Reload
	v_fma_f64 v[180:181], v[16:17], s[2:3], v[4:5]
	v_fma_f64 v[164:165], v[16:17], s[10:11], v[4:5]
	;; [unrolled: 1-line block ×14, first 2 shown]
	s_waitcnt vmcnt(0)
	ds_store_b128 v0, v[168:171]
	ds_store_b128 v0, v[196:199] offset:16
	ds_store_b128 v0, v[192:195] offset:32
	scratch_load_b32 v0, off, off offset:240 ; 4-byte Folded Reload
	s_waitcnt vmcnt(0)
	ds_store_b128 v0, v[188:191]
	ds_store_b128 v0, v[180:183] offset:16
	ds_store_b128 v0, v[164:167] offset:32
	scratch_load_b32 v0, off, off offset:224 ; 4-byte Folded Reload
	s_waitcnt vmcnt(0)
	ds_store_b128 v0, v[176:179]
	ds_store_b128 v0, v[160:163] offset:16
	ds_store_b128 v0, v[172:175] offset:32
	s_and_saveexec_b32 s1, vcc_lo
	s_cbranch_execz .LBB0_21
; %bb.20:
	scratch_load_b32 v0, off, off offset:312 ; 4-byte Folded Reload
	s_waitcnt vmcnt(0)
	v_lshlrev_b32_e32 v0, 4, v0
	ds_store_b128 v0, v[184:187]
	ds_store_b128 v0, v[200:203] offset:16
	ds_store_b128 v0, v[204:207] offset:32
.LBB0_21:
	s_or_b32 exec_lo, exec_lo, s1
	s_waitcnt lgkmcnt(0)
	s_barrier
	buffer_gl0_inv
	s_and_saveexec_b32 s1, s0
	s_cbranch_execz .LBB0_23
; %bb.22:
	ds_load_b128 v[168:171], v255
	ds_load_b128 v[196:199], v255 offset:1584
	ds_load_b128 v[192:195], v255 offset:3168
	;; [unrolled: 1-line block ×12, first 2 shown]
.LBB0_23:
	s_or_b32 exec_lo, exec_lo, s1
	scratch_load_b128 v[2:5], off, off offset:192 ; 16-byte Folded Reload
	s_mov_b32 s18, 0x42a4c3d2
	s_mov_b32 s19, 0xbfea55e2
	;; [unrolled: 1-line block ×33, first 2 shown]
	s_waitcnt vmcnt(0) lgkmcnt(11)
	v_mul_f64 v[0:1], v[4:5], v[196:197]
	s_delay_alu instid0(VALU_DEP_1) | instskip(SKIP_1) | instid1(VALU_DEP_1)
	v_fma_f64 v[215:216], v[2:3], v[198:199], -v[0:1]
	v_mul_f64 v[0:1], v[4:5], v[198:199]
	v_fma_f64 v[217:218], v[2:3], v[196:197], v[0:1]
	s_waitcnt lgkmcnt(0)
	v_mul_f64 v[0:1], v[90:91], v[156:157]
	scratch_load_b128 v[2:5], off, off offset:208 ; 16-byte Folded Reload
	v_fma_f64 v[78:79], v[88:89], v[158:159], -v[0:1]
	v_mul_f64 v[0:1], v[90:91], v[158:159]
	s_delay_alu instid0(VALU_DEP_2) | instskip(NEXT) | instid1(VALU_DEP_2)
	v_add_f64 v[20:21], v[215:216], -v[78:79]
	v_fma_f64 v[82:83], v[88:89], v[156:157], v[0:1]
	v_mul_f64 v[0:1], v[66:67], v[192:193]
	v_add_f64 v[22:23], v[215:216], v[78:79]
	s_delay_alu instid0(VALU_DEP_4) | instskip(NEXT) | instid1(VALU_DEP_4)
	v_mul_f64 v[26:27], v[20:21], s[18:19]
	v_add_f64 v[18:19], v[217:218], v[82:83]
	s_delay_alu instid0(VALU_DEP_4)
	v_fma_f64 v[88:89], v[64:65], v[194:195], -v[0:1]
	v_mul_f64 v[0:1], v[66:67], v[194:195]
	v_add_f64 v[24:25], v[217:218], -v[82:83]
	v_mul_f64 v[28:29], v[22:23], s[10:11]
	v_mul_f64 v[30:31], v[20:21], s[24:25]
	;; [unrolled: 1-line block ×5, first 2 shown]
	v_fma_f64 v[90:91], v[64:65], v[192:193], v[0:1]
	v_mul_f64 v[0:1], v[74:75], v[204:205]
	s_delay_alu instid0(VALU_DEP_1) | instskip(SKIP_1) | instid1(VALU_DEP_1)
	v_fma_f64 v[64:65], v[72:73], v[206:207], -v[0:1]
	v_mul_f64 v[0:1], v[74:75], v[206:207]
	v_fma_f64 v[66:67], v[72:73], v[204:205], v[0:1]
	v_mul_f64 v[0:1], v[54:55], v[188:189]
	s_delay_alu instid0(VALU_DEP_1) | instskip(SKIP_1) | instid1(VALU_DEP_1)
	v_fma_f64 v[72:73], v[52:53], v[190:191], -v[0:1]
	v_mul_f64 v[0:1], v[54:55], v[190:191]
	v_fma_f64 v[74:75], v[52:53], v[188:189], v[0:1]
	v_mul_f64 v[0:1], v[62:63], v[200:201]
	s_delay_alu instid0(VALU_DEP_1) | instskip(SKIP_1) | instid1(VALU_DEP_1)
	v_fma_f64 v[52:53], v[60:61], v[202:203], -v[0:1]
	v_mul_f64 v[0:1], v[62:63], v[202:203]
	v_fma_f64 v[54:55], v[60:61], v[200:201], v[0:1]
	s_waitcnt vmcnt(0)
	v_mul_f64 v[0:1], v[4:5], v[180:181]
	s_delay_alu instid0(VALU_DEP_2) | instskip(NEXT) | instid1(VALU_DEP_2)
	v_add_f64 v[188:189], v[74:75], -v[54:55]
	v_fma_f64 v[60:61], v[2:3], v[182:183], -v[0:1]
	v_mul_f64 v[0:1], v[4:5], v[182:183]
	s_delay_alu instid0(VALU_DEP_1)
	v_fma_f64 v[158:159], v[2:3], v[180:181], v[0:1]
	scratch_load_b128 v[2:5], off, off offset:248 ; 16-byte Folded Reload
	v_mul_f64 v[0:1], v[58:59], v[184:185]
	v_add_f64 v[180:181], v[90:91], -v[66:67]
	s_waitcnt vmcnt(0)
	s_barrier
	buffer_gl0_inv
	v_fma_f64 v[62:63], v[56:57], v[186:187], -v[0:1]
	v_mul_f64 v[0:1], v[58:59], v[186:187]
	s_delay_alu instid0(VALU_DEP_2) | instskip(NEXT) | instid1(VALU_DEP_2)
	v_add_f64 v[182:183], v[60:61], v[62:63]
	v_fma_f64 v[56:57], v[56:57], v[184:185], v[0:1]
	v_add_f64 v[184:185], v[60:61], -v[62:63]
	s_delay_alu instid0(VALU_DEP_3) | instskip(NEXT) | instid1(VALU_DEP_3)
	v_mul_f64 v[227:228], v[182:183], s[16:17]
	v_add_f64 v[200:201], v[158:159], -v[56:57]
	s_delay_alu instid0(VALU_DEP_3) | instskip(SKIP_3) | instid1(VALU_DEP_1)
	v_mul_f64 v[221:222], v[184:185], s[26:27]
	v_mul_f64 v[245:246], v[184:185], s[42:43]
	;; [unrolled: 1-line block ×4, first 2 shown]
	v_fma_f64 v[58:59], v[2:3], v[166:167], -v[0:1]
	v_mul_f64 v[0:1], v[4:5], v[166:167]
	s_delay_alu instid0(VALU_DEP_1) | instskip(SKIP_1) | instid1(VALU_DEP_1)
	v_fma_f64 v[166:167], v[2:3], v[164:165], v[0:1]
	v_mul_f64 v[0:1], v[86:87], v[172:173]
	v_fma_f64 v[164:165], v[84:85], v[174:175], -v[0:1]
	v_mul_f64 v[0:1], v[86:87], v[174:175]
	v_add_f64 v[174:175], v[158:159], v[56:57]
	s_delay_alu instid0(VALU_DEP_3) | instskip(NEXT) | instid1(VALU_DEP_3)
	v_add_f64 v[198:199], v[58:59], -v[164:165]
	v_fma_f64 v[229:230], v[84:85], v[172:173], v[0:1]
	v_mul_f64 v[0:1], v[50:51], v[176:177]
	v_add_f64 v[172:173], v[72:73], v[52:53]
	v_add_f64 v[190:191], v[58:59], v[164:165]
	v_mul_f64 v[231:232], v[198:199], s[30:31]
	v_add_f64 v[186:187], v[166:167], v[229:230]
	v_fma_f64 v[86:87], v[48:49], v[178:179], -v[0:1]
	v_mul_f64 v[0:1], v[50:51], v[178:179]
	v_add_f64 v[178:179], v[72:73], -v[52:53]
	v_mul_f64 v[223:224], v[172:173], s[12:13]
	v_add_f64 v[202:203], v[166:167], -v[229:230]
	v_mul_f64 v[237:238], v[190:191], s[22:23]
	v_mul_f64 v[211:212], v[172:173], s[2:3]
	;; [unrolled: 1-line block ×5, first 2 shown]
	v_fma_f64 v[48:49], v[48:49], v[176:177], v[0:1]
	v_mul_f64 v[0:1], v[70:71], v[160:161]
	v_add_f64 v[176:177], v[88:89], -v[64:65]
	v_mul_f64 v[219:220], v[178:179], s[20:21]
	v_mul_f64 v[243:244], v[178:179], s[38:39]
	s_delay_alu instid0(VALU_DEP_4)
	v_fma_f64 v[50:51], v[68:69], v[162:163], -v[0:1]
	v_mul_f64 v[0:1], v[70:71], v[162:163]
	v_mul_f64 v[156:157], v[176:177], s[14:15]
	v_add_f64 v[162:163], v[74:75], v[54:55]
	v_mul_f64 v[233:234], v[176:177], s[20:21]
	v_mul_f64 v[241:242], v[176:177], s[26:27]
	v_add_f64 v[204:205], v[86:87], -v[50:51]
	v_fma_f64 v[70:71], v[68:69], v[160:161], v[0:1]
	v_fma_f64 v[0:1], v[18:19], s[10:11], -v[26:27]
	v_add_f64 v[68:69], v[90:91], v[66:67]
	v_add_f64 v[160:161], v[88:89], v[64:65]
	;; [unrolled: 1-line block ×3, first 2 shown]
	v_mul_f64 v[235:236], v[204:205], s[42:43]
	v_add_f64 v[192:193], v[48:49], v[70:71]
	v_add_f64 v[0:1], v[168:169], v[0:1]
	v_fma_f64 v[2:3], v[68:69], s[2:3], -v[156:157]
	v_mul_f64 v[80:81], v[160:161], s[2:3]
	v_add_f64 v[206:207], v[48:49], -v[70:71]
	v_mul_f64 v[249:250], v[194:195], s[28:29]
	v_mul_f64 v[239:240], v[160:161], s[12:13]
	;; [unrolled: 1-line block ×4, first 2 shown]
	v_add_f64 v[0:1], v[2:3], v[0:1]
	v_fma_f64 v[2:3], v[24:25], s[18:19], v[28:29]
	v_fma_f64 v[4:5], v[180:181], s[14:15], v[80:81]
	s_delay_alu instid0(VALU_DEP_2) | instskip(NEXT) | instid1(VALU_DEP_1)
	v_add_f64 v[2:3], v[170:171], v[2:3]
	v_add_f64 v[2:3], v[4:5], v[2:3]
	v_fma_f64 v[4:5], v[162:163], s[12:13], -v[219:220]
	s_delay_alu instid0(VALU_DEP_1) | instskip(SKIP_1) | instid1(VALU_DEP_1)
	v_add_f64 v[0:1], v[4:5], v[0:1]
	v_fma_f64 v[4:5], v[188:189], s[20:21], v[223:224]
	v_add_f64 v[2:3], v[4:5], v[2:3]
	v_fma_f64 v[4:5], v[174:175], s[16:17], -v[221:222]
	s_delay_alu instid0(VALU_DEP_1) | instskip(SKIP_1) | instid1(VALU_DEP_1)
	v_add_f64 v[0:1], v[4:5], v[0:1]
	v_fma_f64 v[4:5], v[200:201], s[26:27], v[227:228]
	;; [unrolled: 5-line block ×3, first 2 shown]
	v_add_f64 v[2:3], v[4:5], v[2:3]
	v_fma_f64 v[4:5], v[192:193], s[28:29], -v[235:236]
	s_delay_alu instid0(VALU_DEP_1) | instskip(SKIP_2) | instid1(VALU_DEP_2)
	v_add_f64 v[36:37], v[4:5], v[0:1]
	v_fma_f64 v[0:1], v[206:207], s[42:43], v[249:250]
	v_fma_f64 v[4:5], v[180:181], s[20:21], v[239:240]
	v_add_f64 v[38:39], v[0:1], v[2:3]
	v_fma_f64 v[0:1], v[18:19], s[22:23], -v[30:31]
	v_fma_f64 v[2:3], v[68:69], s[12:13], -v[233:234]
	s_delay_alu instid0(VALU_DEP_2) | instskip(NEXT) | instid1(VALU_DEP_1)
	v_add_f64 v[0:1], v[168:169], v[0:1]
	v_add_f64 v[0:1], v[2:3], v[0:1]
	v_fma_f64 v[2:3], v[24:25], s[24:25], v[32:33]
	s_delay_alu instid0(VALU_DEP_1) | instskip(NEXT) | instid1(VALU_DEP_1)
	v_add_f64 v[2:3], v[170:171], v[2:3]
	v_add_f64 v[2:3], v[4:5], v[2:3]
	v_fma_f64 v[4:5], v[162:163], s[2:3], -v[243:244]
	s_delay_alu instid0(VALU_DEP_1) | instskip(SKIP_1) | instid1(VALU_DEP_1)
	v_add_f64 v[0:1], v[4:5], v[0:1]
	v_fma_f64 v[4:5], v[188:189], s[38:39], v[211:212]
	v_add_f64 v[2:3], v[4:5], v[2:3]
	v_fma_f64 v[4:5], v[174:175], s[28:29], -v[245:246]
	s_delay_alu instid0(VALU_DEP_1) | instskip(SKIP_1) | instid1(VALU_DEP_1)
	v_add_f64 v[0:1], v[4:5], v[0:1]
	v_fma_f64 v[4:5], v[200:201], s[42:43], v[253:254]
	;; [unrolled: 5-line block ×4, first 2 shown]
	v_add_f64 v[42:43], v[0:1], v[2:3]
	v_fma_f64 v[0:1], v[18:19], s[2:3], -v[34:35]
	v_fma_f64 v[2:3], v[68:69], s[16:17], -v[241:242]
	s_delay_alu instid0(VALU_DEP_2) | instskip(NEXT) | instid1(VALU_DEP_1)
	v_add_f64 v[0:1], v[168:169], v[0:1]
	v_add_f64 v[4:5], v[2:3], v[0:1]
	v_fma_f64 v[0:1], v[24:25], s[14:15], v[196:197]
	s_delay_alu instid0(VALU_DEP_1) | instskip(SKIP_1) | instid1(VALU_DEP_1)
	v_add_f64 v[2:3], v[170:171], v[0:1]
	v_mul_f64 v[0:1], v[160:161], s[16:17]
	v_fma_f64 v[6:7], v[180:181], s[26:27], v[0:1]
	s_delay_alu instid0(VALU_DEP_1) | instskip(SKIP_1) | instid1(VALU_DEP_1)
	v_add_f64 v[6:7], v[6:7], v[2:3]
	v_mul_f64 v[2:3], v[178:179], s[42:43]
	v_fma_f64 v[8:9], v[162:163], s[28:29], -v[2:3]
	s_delay_alu instid0(VALU_DEP_1) | instskip(SKIP_1) | instid1(VALU_DEP_1)
	v_add_f64 v[8:9], v[8:9], v[4:5]
	v_fma_f64 v[4:5], v[188:189], s[42:43], v[12:13]
	v_add_f64 v[6:7], v[4:5], v[6:7]
	v_mul_f64 v[4:5], v[184:185], s[24:25]
	s_delay_alu instid0(VALU_DEP_1) | instskip(NEXT) | instid1(VALU_DEP_1)
	v_fma_f64 v[10:11], v[174:175], s[22:23], -v[4:5]
	v_add_f64 v[8:9], v[10:11], v[8:9]
	v_mul_f64 v[10:11], v[182:183], s[22:23]
	s_delay_alu instid0(VALU_DEP_1) | instskip(NEXT) | instid1(VALU_DEP_1)
	v_fma_f64 v[14:15], v[200:201], s[24:25], v[10:11]
	v_add_f64 v[16:17], v[14:15], v[6:7]
	v_mul_f64 v[6:7], v[198:199], s[36:37]
	s_delay_alu instid0(VALU_DEP_1) | instskip(NEXT) | instid1(VALU_DEP_1)
	v_fma_f64 v[14:15], v[186:187], s[12:13], -v[6:7]
	v_add_f64 v[44:45], v[14:15], v[8:9]
	v_mul_f64 v[14:15], v[190:191], s[12:13]
	s_delay_alu instid0(VALU_DEP_1) | instskip(NEXT) | instid1(VALU_DEP_1)
	v_fma_f64 v[8:9], v[202:203], s[36:37], v[14:15]
	v_add_f64 v[46:47], v[8:9], v[16:17]
	v_mul_f64 v[8:9], v[204:205], s[40:41]
	s_delay_alu instid0(VALU_DEP_1) | instskip(NEXT) | instid1(VALU_DEP_1)
	v_fma_f64 v[16:17], v[192:193], s[10:11], -v[8:9]
	v_add_f64 v[44:45], v[16:17], v[44:45]
	v_mul_f64 v[16:17], v[194:195], s[10:11]
	s_delay_alu instid0(VALU_DEP_1) | instskip(NEXT) | instid1(VALU_DEP_1)
	v_fma_f64 v[76:77], v[206:207], s[40:41], v[16:17]
	v_add_f64 v[46:47], v[76:77], v[46:47]
	s_and_saveexec_b32 s1, s0
	s_cbranch_execz .LBB0_25
; %bb.24:
	s_clause 0x3
	scratch_store_b64 off, v[78:79], off offset:192
	scratch_store_b64 off, v[82:83], off offset:208
	;; [unrolled: 1-line block ×4, first 2 shown]
	v_mul_f64 v[78:79], v[18:19], s[2:3]
	v_mul_f64 v[76:77], v[24:25], s[14:15]
	;; [unrolled: 1-line block ×3, first 2 shown]
	s_clause 0x1
	scratch_store_b64 off, v[90:91], off offset:312
	scratch_store_b64 off, v[62:63], off offset:352
	v_mul_f64 v[90:91], v[202:203], s[42:43]
	v_mul_f64 v[64:65], v[198:199], s[42:43]
	s_clause 0x3
	scratch_store_b64 off, v[52:53], off offset:240
	scratch_store_b64 off, v[54:55], off offset:248
	;; [unrolled: 1-line block ×4, first 2 shown]
	v_mul_f64 v[88:89], v[176:177], s[42:43]
	v_mul_f64 v[66:67], v[24:25], s[20:21]
	v_dual_mov_b32 v86, v227 :: v_dual_mov_b32 v87, v228
	v_dual_mov_b32 v228, v157 :: v_dual_mov_b32 v227, v156
	v_mul_f64 v[156:157], v[24:25], s[34:35]
	s_clause 0x1
	scratch_store_b64 off, v[72:73], off offset:360
	scratch_store_b64 off, v[56:57], off offset:368
	v_dual_mov_b32 v62, v219 :: v_dual_mov_b32 v63, v220
	v_mul_f64 v[219:220], v[20:21], s[34:35]
	scratch_store_b64 off, v[74:75], off offset:376 ; 8-byte Folded Spill
	v_dual_mov_b32 v56, v221 :: v_dual_mov_b32 v57, v222
	v_dual_mov_b32 v84, v164 :: v_dual_mov_b32 v85, v165
	;; [unrolled: 1-line block ×5, first 2 shown]
	v_mul_f64 v[223:224], v[206:207], s[30:31]
	v_mul_f64 v[225:226], v[204:205], s[30:31]
	v_add_f64 v[34:35], v[78:79], v[34:35]
	v_mul_f64 v[78:79], v[24:25], s[24:25]
	v_add_f64 v[76:77], v[196:197], -v[76:77]
	v_mul_f64 v[196:197], v[180:181], s[42:43]
	v_fma_f64 v[72:73], v[22:23], s[12:13], v[66:67]
	v_fma_f64 v[66:67], v[22:23], s[12:13], -v[66:67]
	v_fma_f64 v[52:53], v[22:23], s[16:17], v[156:157]
	v_fma_f64 v[156:157], v[22:23], s[16:17], -v[156:157]
	v_add_f64 v[34:35], v[168:169], v[34:35]
	v_add_f64 v[32:33], v[32:33], -v[78:79]
	v_mul_f64 v[78:79], v[18:19], s[22:23]
	v_add_f64 v[76:77], v[170:171], v[76:77]
	v_add_f64 v[66:67], v[170:171], v[66:67]
	;; [unrolled: 1-line block ×5, first 2 shown]
	v_mul_f64 v[78:79], v[24:25], s[18:19]
	s_delay_alu instid0(VALU_DEP_2) | instskip(NEXT) | instid1(VALU_DEP_2)
	v_add_f64 v[30:31], v[168:169], v[30:31]
	v_add_f64 v[28:29], v[28:29], -v[78:79]
	v_mul_f64 v[78:79], v[18:19], s[10:11]
	s_delay_alu instid0(VALU_DEP_2) | instskip(NEXT) | instid1(VALU_DEP_2)
	v_add_f64 v[28:29], v[170:171], v[28:29]
	v_add_f64 v[26:27], v[78:79], v[26:27]
	v_mul_f64 v[78:79], v[188:189], s[42:43]
	s_delay_alu instid0(VALU_DEP_2) | instskip(SKIP_3) | instid1(SALU_CYCLE_1)
	v_add_f64 v[26:27], v[168:169], v[26:27]
	scratch_store_b64 off, v[78:79], off offset:424 ; 8-byte Folded Spill
	v_mul_f64 v[78:79], v[200:201], s[42:43]
	s_mov_b32 s43, 0xbfddbe06
	v_mul_f64 v[24:25], v[24:25], s[42:43]
	s_delay_alu instid0(VALU_DEP_2) | instskip(NEXT) | instid1(VALU_DEP_2)
	v_add_f64 v[78:79], v[253:254], -v[78:79]
	v_fma_f64 v[54:55], v[22:23], s[28:29], v[24:25]
	v_fma_f64 v[22:23], v[22:23], s[28:29], -v[24:25]
	v_mul_f64 v[24:25], v[20:21], s[20:21]
	v_mul_f64 v[20:21], v[20:21], s[42:43]
	s_delay_alu instid0(VALU_DEP_4)
	v_add_f64 v[54:55], v[170:171], v[54:55]
	scratch_store_b64 off, v[60:61], off offset:384 ; 8-byte Folded Spill
	v_fma_f64 v[74:75], v[18:19], s[12:13], -v[24:25]
	v_fma_f64 v[24:25], v[18:19], s[12:13], v[24:25]
	v_fma_f64 v[60:61], v[18:19], s[16:17], -v[219:220]
	v_fma_f64 v[219:220], v[18:19], s[16:17], v[219:220]
	;; [unrolled: 2-line block ×3, first 2 shown]
	v_add_f64 v[20:21], v[170:171], v[215:216]
	scratch_store_b64 off, v[54:55], off offset:408 ; 8-byte Folded Spill
	v_add_f64 v[24:25], v[168:169], v[24:25]
	v_add_f64 v[60:61], v[168:169], v[60:61]
	;; [unrolled: 1-line block ×3, first 2 shown]
	scratch_store_b64 off, v[20:21], off offset:392 ; 8-byte Folded Spill
	v_add_f64 v[20:21], v[168:169], v[217:218]
	s_clause 0x1
	scratch_store_b64 off, v[54:55], off offset:416
	scratch_store_b64 off, v[20:21], off offset:400
	v_add_f64 v[20:21], v[170:171], v[72:73]
	v_add_f64 v[72:73], v[168:169], v[74:75]
	;; [unrolled: 1-line block ×5, first 2 shown]
	v_fma_f64 v[18:19], v[160:161], s[28:29], v[196:197]
	v_add_f64 v[170:171], v[170:171], v[22:23]
	v_mul_f64 v[22:23], v[188:189], s[34:35]
	v_fma_f64 v[196:197], v[160:161], s[28:29], -v[196:197]
	s_delay_alu instid0(VALU_DEP_4) | instskip(SKIP_2) | instid1(VALU_DEP_4)
	v_add_f64 v[18:19], v[18:19], v[20:21]
	v_fma_f64 v[20:21], v[68:69], s[28:29], -v[88:89]
	v_fma_f64 v[88:89], v[68:69], s[28:29], v[88:89]
	v_add_f64 v[66:67], v[196:197], v[66:67]
	v_mul_f64 v[196:197], v[200:201], s[26:27]
	s_delay_alu instid0(VALU_DEP_4)
	v_add_f64 v[20:21], v[20:21], v[72:73]
	v_fma_f64 v[72:73], v[172:173], s[16:17], v[22:23]
	v_fma_f64 v[22:23], v[172:173], s[16:17], -v[22:23]
	v_add_f64 v[24:25], v[88:89], v[24:25]
	v_mul_f64 v[88:89], v[68:69], s[2:3]
	v_add_f64 v[196:197], v[86:87], -v[196:197]
	v_add_f64 v[18:19], v[72:73], v[18:19]
	v_mul_f64 v[72:73], v[178:179], s[34:35]
	v_add_f64 v[22:23], v[22:23], v[66:67]
	v_add_f64 v[88:89], v[88:89], v[227:228]
	s_delay_alu instid0(VALU_DEP_3) | instskip(SKIP_2) | instid1(VALU_DEP_4)
	v_fma_f64 v[221:222], v[162:163], s[16:17], -v[72:73]
	v_fma_f64 v[66:67], v[162:163], s[16:17], v[72:73]
	v_mul_f64 v[72:73], v[162:163], s[12:13]
	v_add_f64 v[26:27], v[88:89], v[26:27]
	v_mul_f64 v[88:89], v[202:203], s[18:19]
	v_add_f64 v[20:21], v[221:222], v[20:21]
	;; [unrolled: 2-line block ×3, first 2 shown]
	v_add_f64 v[72:73], v[72:73], v[62:63]
	v_add_f64 v[88:89], v[213:214], -v[88:89]
	s_delay_alu instid0(VALU_DEP_4) | instskip(SKIP_1) | instid1(VALU_DEP_4)
	v_fma_f64 v[215:216], v[182:183], s[10:11], v[221:222]
	v_fma_f64 v[66:67], v[182:183], s[10:11], -v[221:222]
	v_add_f64 v[26:27], v[72:73], v[26:27]
	v_add_f64 v[72:73], v[249:250], -v[82:83]
	v_mul_f64 v[82:83], v[174:175], s[28:29]
	v_add_f64 v[18:19], v[215:216], v[18:19]
	v_mul_f64 v[215:216], v[184:185], s[40:41]
	v_add_f64 v[22:23], v[66:67], v[22:23]
	s_delay_alu instid0(VALU_DEP_4) | instskip(NEXT) | instid1(VALU_DEP_3)
	v_add_f64 v[82:83], v[82:83], v[245:246]
	v_fma_f64 v[217:218], v[174:175], s[10:11], -v[215:216]
	v_fma_f64 v[66:67], v[174:175], s[10:11], v[215:216]
	v_mul_f64 v[215:216], v[174:175], s[16:17]
	s_delay_alu instid0(VALU_DEP_3) | instskip(SKIP_1) | instid1(VALU_DEP_4)
	v_add_f64 v[20:21], v[217:218], v[20:21]
	v_mul_f64 v[217:218], v[202:203], s[14:15]
	v_add_f64 v[24:25], v[66:67], v[24:25]
	s_delay_alu instid0(VALU_DEP_2) | instskip(SKIP_1) | instid1(VALU_DEP_2)
	v_fma_f64 v[54:55], v[190:191], s[2:3], v[217:218]
	v_fma_f64 v[66:67], v[190:191], s[2:3], -v[217:218]
	v_add_f64 v[18:19], v[54:55], v[18:19]
	v_mul_f64 v[54:55], v[198:199], s[14:15]
	s_delay_alu instid0(VALU_DEP_3) | instskip(SKIP_1) | instid1(VALU_DEP_3)
	v_add_f64 v[22:23], v[66:67], v[22:23]
	v_fma_f64 v[66:67], v[192:193], s[22:23], v[225:226]
	v_fma_f64 v[219:220], v[186:187], s[2:3], -v[54:55]
	v_fma_f64 v[54:55], v[186:187], s[2:3], v[54:55]
	s_delay_alu instid0(VALU_DEP_2) | instskip(NEXT) | instid1(VALU_DEP_2)
	v_add_f64 v[219:220], v[219:220], v[20:21]
	v_add_f64 v[54:55], v[54:55], v[24:25]
	v_fma_f64 v[24:25], v[194:195], s[22:23], -v[223:224]
	v_fma_f64 v[20:21], v[194:195], s[22:23], v[223:224]
	s_delay_alu instid0(VALU_DEP_2) | instskip(NEXT) | instid1(VALU_DEP_4)
	v_add_f64 v[24:25], v[24:25], v[22:23]
	v_add_f64 v[22:23], v[66:67], v[54:55]
	v_mul_f64 v[66:67], v[180:181], s[14:15]
	v_mul_f64 v[54:55], v[188:189], s[20:21]
	v_add_f64 v[20:21], v[20:21], v[18:19]
	v_fma_f64 v[18:19], v[192:193], s[22:23], -v[225:226]
	s_delay_alu instid0(VALU_DEP_4) | instskip(NEXT) | instid1(VALU_DEP_4)
	v_add_f64 v[66:67], v[80:81], -v[66:67]
	v_add_f64 v[54:55], v[158:159], -v[54:55]
	v_add_f64 v[80:81], v[215:216], v[56:57]
	s_delay_alu instid0(VALU_DEP_4) | instskip(NEXT) | instid1(VALU_DEP_4)
	v_add_f64 v[18:19], v[18:19], v[219:220]
	v_add_f64 v[28:29], v[66:67], v[28:29]
	v_mul_f64 v[66:67], v[202:203], s[30:31]
	s_delay_alu instid0(VALU_DEP_4) | instskip(SKIP_1) | instid1(VALU_DEP_4)
	v_add_f64 v[26:27], v[80:81], v[26:27]
	v_mul_f64 v[80:81], v[192:193], s[28:29]
	v_add_f64 v[28:29], v[54:55], v[28:29]
	s_delay_alu instid0(VALU_DEP_4) | instskip(SKIP_1) | instid1(VALU_DEP_4)
	v_add_f64 v[66:67], v[237:238], -v[66:67]
	v_mul_f64 v[54:55], v[186:187], s[22:23]
	v_add_f64 v[80:81], v[80:81], v[235:236]
	s_delay_alu instid0(VALU_DEP_4) | instskip(NEXT) | instid1(VALU_DEP_3)
	v_add_f64 v[28:29], v[196:197], v[28:29]
	v_add_f64 v[54:55], v[54:55], v[231:232]
	s_delay_alu instid0(VALU_DEP_2) | instskip(SKIP_1) | instid1(VALU_DEP_3)
	v_add_f64 v[28:29], v[66:67], v[28:29]
	v_mul_f64 v[66:67], v[180:181], s[20:21]
	v_add_f64 v[26:27], v[54:55], v[26:27]
	v_mul_f64 v[54:55], v[188:189], s[38:39]
	s_delay_alu instid0(VALU_DEP_4) | instskip(NEXT) | instid1(VALU_DEP_4)
	v_add_f64 v[28:29], v[72:73], v[28:29]
	v_add_f64 v[66:67], v[239:240], -v[66:67]
	s_delay_alu instid0(VALU_DEP_4) | instskip(NEXT) | instid1(VALU_DEP_4)
	v_add_f64 v[26:27], v[80:81], v[26:27]
	v_add_f64 v[54:55], v[211:212], -v[54:55]
	v_mul_f64 v[80:81], v[68:69], s[12:13]
	v_mul_f64 v[72:73], v[162:163], s[2:3]
	v_add_f64 v[32:33], v[66:67], v[32:33]
	v_mul_f64 v[66:67], v[186:187], s[10:11]
	s_delay_alu instid0(VALU_DEP_4) | instskip(NEXT) | instid1(VALU_DEP_4)
	v_add_f64 v[80:81], v[80:81], v[233:234]
	v_add_f64 v[72:73], v[72:73], v[243:244]
	s_delay_alu instid0(VALU_DEP_4) | instskip(SKIP_3) | instid1(VALU_DEP_4)
	v_add_f64 v[32:33], v[54:55], v[32:33]
	v_mul_f64 v[54:55], v[206:207], s[34:35]
	v_add_f64 v[66:67], v[66:67], v[247:248]
	v_add_f64 v[30:31], v[80:81], v[30:31]
	;; [unrolled: 1-line block ×3, first 2 shown]
	s_delay_alu instid0(VALU_DEP_4) | instskip(SKIP_1) | instid1(VALU_DEP_4)
	v_add_f64 v[54:55], v[208:209], -v[54:55]
	v_mul_f64 v[78:79], v[204:205], s[20:21]
	v_add_f64 v[30:31], v[72:73], v[30:31]
	v_mul_f64 v[72:73], v[192:193], s[16:17]
	v_add_f64 v[32:33], v[88:89], v[32:33]
	s_delay_alu instid0(VALU_DEP_3) | instskip(NEXT) | instid1(VALU_DEP_3)
	v_add_f64 v[30:31], v[82:83], v[30:31]
	v_add_f64 v[72:73], v[72:73], v[251:252]
	s_delay_alu instid0(VALU_DEP_3)
	v_add_f64 v[32:33], v[54:55], v[32:33]
	s_clause 0x2
	scratch_load_b64 v[54:55], off, off offset:424
	scratch_load_b64 v[56:57], off, off offset:304
	;; [unrolled: 1-line block ×3, first 2 shown]
	v_add_f64 v[30:31], v[66:67], v[30:31]
	v_mul_f64 v[66:67], v[200:201], s[24:25]
	s_delay_alu instid0(VALU_DEP_2) | instskip(NEXT) | instid1(VALU_DEP_2)
	v_add_f64 v[30:31], v[72:73], v[30:31]
	v_add_f64 v[10:11], v[10:11], -v[66:67]
	v_mul_f64 v[66:67], v[174:175], s[22:23]
	v_mul_f64 v[72:73], v[204:205], s[14:15]
	s_delay_alu instid0(VALU_DEP_2) | instskip(SKIP_1) | instid1(VALU_DEP_1)
	v_add_f64 v[4:5], v[66:67], v[4:5]
	v_mul_f64 v[66:67], v[202:203], s[36:37]
	v_add_f64 v[14:15], v[14:15], -v[66:67]
	v_mul_f64 v[66:67], v[206:207], s[14:15]
	s_waitcnt vmcnt(2)
	v_add_f64 v[12:13], v[12:13], -v[54:55]
	v_mul_f64 v[54:55], v[180:181], s[26:27]
	s_delay_alu instid0(VALU_DEP_1) | instskip(SKIP_1) | instid1(VALU_DEP_2)
	v_add_f64 v[0:1], v[0:1], -v[54:55]
	v_mul_f64 v[54:55], v[162:163], s[28:29]
	v_add_f64 v[0:1], v[0:1], v[76:77]
	s_delay_alu instid0(VALU_DEP_2) | instskip(SKIP_2) | instid1(VALU_DEP_4)
	v_add_f64 v[2:3], v[54:55], v[2:3]
	v_mul_f64 v[54:55], v[68:69], s[16:17]
	v_mul_f64 v[76:77], v[206:207], s[20:21]
	v_add_f64 v[0:1], v[12:13], v[0:1]
	v_mul_f64 v[12:13], v[206:207], s[40:41]
	s_delay_alu instid0(VALU_DEP_4) | instskip(NEXT) | instid1(VALU_DEP_3)
	v_add_f64 v[54:55], v[54:55], v[241:242]
	v_add_f64 v[0:1], v[10:11], v[0:1]
	s_delay_alu instid0(VALU_DEP_3) | instskip(NEXT) | instid1(VALU_DEP_3)
	v_add_f64 v[12:13], v[16:17], -v[12:13]
	v_add_f64 v[34:35], v[54:55], v[34:35]
	v_mul_f64 v[54:55], v[186:187], s[12:13]
	v_mul_f64 v[10:11], v[176:177], s[30:31]
	v_add_f64 v[0:1], v[14:15], v[0:1]
	s_delay_alu instid0(VALU_DEP_4) | instskip(NEXT) | instid1(VALU_DEP_4)
	v_add_f64 v[2:3], v[2:3], v[34:35]
	v_add_f64 v[6:7], v[54:55], v[6:7]
	s_delay_alu instid0(VALU_DEP_2) | instskip(SKIP_1) | instid1(VALU_DEP_2)
	v_add_f64 v[2:3], v[4:5], v[2:3]
	v_mul_f64 v[4:5], v[192:193], s[10:11]
	v_add_f64 v[6:7], v[6:7], v[2:3]
	s_delay_alu instid0(VALU_DEP_2) | instskip(SKIP_3) | instid1(VALU_DEP_4)
	v_add_f64 v[4:5], v[4:5], v[8:9]
	v_mul_f64 v[8:9], v[180:181], s[30:31]
	v_add_f64 v[2:3], v[12:13], v[0:1]
	v_mul_f64 v[12:13], v[188:189], s[18:19]
	v_add_f64 v[0:1], v[4:5], v[6:7]
	s_delay_alu instid0(VALU_DEP_4) | instskip(SKIP_1) | instid1(VALU_DEP_4)
	v_fma_f64 v[4:5], v[160:161], s[22:23], -v[8:9]
	v_fma_f64 v[6:7], v[68:69], s[22:23], v[10:11]
	v_fma_f64 v[14:15], v[172:173], s[10:11], -v[12:13]
	v_fma_f64 v[8:9], v[160:161], s[22:23], v[8:9]
	;; [unrolled: 2-line block ×3, first 2 shown]
	v_add_f64 v[4:5], v[4:5], v[74:75]
	v_add_f64 v[6:7], v[6:7], v[156:157]
	;; [unrolled: 1-line block ×4, first 2 shown]
	v_mul_f64 v[52:53], v[188:189], s[24:25]
	v_add_f64 v[4:5], v[14:15], v[4:5]
	v_mul_f64 v[14:15], v[178:179], s[18:19]
	v_add_f64 v[8:9], v[12:13], v[8:9]
	s_delay_alu instid0(VALU_DEP_2) | instskip(SKIP_2) | instid1(VALU_DEP_3)
	v_fma_f64 v[16:17], v[162:163], s[10:11], v[14:15]
	v_fma_f64 v[12:13], v[162:163], s[10:11], -v[14:15]
	v_fma_f64 v[14:15], v[192:193], s[2:3], -v[72:73]
	v_add_f64 v[6:7], v[16:17], v[6:7]
	v_mul_f64 v[16:17], v[200:201], s[36:37]
	s_delay_alu instid0(VALU_DEP_4) | instskip(NEXT) | instid1(VALU_DEP_2)
	v_add_f64 v[10:11], v[12:13], v[10:11]
	v_fma_f64 v[34:35], v[182:183], s[12:13], -v[16:17]
	v_fma_f64 v[12:13], v[182:183], s[12:13], v[16:17]
	v_mul_f64 v[16:17], v[180:181], s[18:19]
	s_delay_alu instid0(VALU_DEP_3) | instskip(SKIP_1) | instid1(VALU_DEP_4)
	v_add_f64 v[4:5], v[34:35], v[4:5]
	v_mul_f64 v[34:35], v[184:185], s[36:37]
	v_add_f64 v[8:9], v[12:13], v[8:9]
	s_delay_alu instid0(VALU_DEP_2) | instskip(SKIP_2) | instid1(VALU_DEP_3)
	v_fma_f64 v[54:55], v[174:175], s[12:13], v[34:35]
	v_fma_f64 v[12:13], v[174:175], s[12:13], -v[34:35]
	v_mul_f64 v[34:35], v[176:177], s[18:19]
	v_add_f64 v[6:7], v[54:55], v[6:7]
	v_fma_f64 v[54:55], v[190:191], s[28:29], -v[90:91]
	s_delay_alu instid0(VALU_DEP_4) | instskip(SKIP_1) | instid1(VALU_DEP_3)
	v_add_f64 v[10:11], v[12:13], v[10:11]
	v_fma_f64 v[12:13], v[190:191], s[28:29], v[90:91]
	v_add_f64 v[4:5], v[54:55], v[4:5]
	v_fma_f64 v[54:55], v[186:187], s[28:29], v[64:65]
	s_delay_alu instid0(VALU_DEP_3) | instskip(SKIP_1) | instid1(VALU_DEP_3)
	v_add_f64 v[8:9], v[12:13], v[8:9]
	v_fma_f64 v[12:13], v[186:187], s[28:29], -v[64:65]
	v_add_f64 v[54:55], v[54:55], v[6:7]
	v_fma_f64 v[6:7], v[194:195], s[2:3], -v[66:67]
	s_delay_alu instid0(VALU_DEP_3) | instskip(SKIP_1) | instid1(VALU_DEP_3)
	v_add_f64 v[12:13], v[12:13], v[10:11]
	v_fma_f64 v[10:11], v[194:195], s[2:3], v[66:67]
	v_add_f64 v[6:7], v[6:7], v[4:5]
	v_fma_f64 v[4:5], v[192:193], s[2:3], v[72:73]
	s_delay_alu instid0(VALU_DEP_3)
	v_add_f64 v[10:11], v[10:11], v[8:9]
	v_add_f64 v[8:9], v[14:15], v[12:13]
	v_fma_f64 v[12:13], v[160:161], s[10:11], -v[16:17]
	v_fma_f64 v[14:15], v[68:69], s[10:11], v[34:35]
	v_fma_f64 v[16:17], v[160:161], s[10:11], v[16:17]
	v_fma_f64 v[34:35], v[68:69], s[10:11], -v[34:35]
	v_add_f64 v[4:5], v[4:5], v[54:55]
	v_fma_f64 v[54:55], v[172:173], s[22:23], -v[52:53]
	v_fma_f64 v[52:53], v[172:173], s[22:23], v[52:53]
	v_add_f64 v[12:13], v[12:13], v[170:171]
	v_add_f64 v[14:15], v[14:15], v[168:169]
	s_delay_alu instid0(VALU_DEP_2) | instskip(SKIP_1) | instid1(VALU_DEP_1)
	v_add_f64 v[12:13], v[54:55], v[12:13]
	v_mul_f64 v[54:55], v[178:179], s[24:25]
	v_fma_f64 v[60:61], v[162:163], s[22:23], v[54:55]
	v_fma_f64 v[54:55], v[162:163], s[22:23], -v[54:55]
	s_delay_alu instid0(VALU_DEP_2) | instskip(SKIP_1) | instid1(VALU_DEP_1)
	v_add_f64 v[14:15], v[60:61], v[14:15]
	v_mul_f64 v[60:61], v[200:201], s[14:15]
	v_fma_f64 v[64:65], v[182:183], s[2:3], -v[60:61]
	s_delay_alu instid0(VALU_DEP_1) | instskip(SKIP_1) | instid1(VALU_DEP_1)
	v_add_f64 v[12:13], v[64:65], v[12:13]
	v_mul_f64 v[64:65], v[184:185], s[14:15]
	v_fma_f64 v[66:67], v[174:175], s[2:3], v[64:65]
	s_delay_alu instid0(VALU_DEP_1) | instskip(SKIP_1) | instid1(VALU_DEP_1)
	v_add_f64 v[14:15], v[66:67], v[14:15]
	v_mul_f64 v[66:67], v[202:203], s[34:35]
	v_fma_f64 v[72:73], v[190:191], s[16:17], -v[66:67]
	s_delay_alu instid0(VALU_DEP_1) | instskip(SKIP_1) | instid1(VALU_DEP_1)
	v_add_f64 v[12:13], v[72:73], v[12:13]
	v_mul_f64 v[72:73], v[198:199], s[34:35]
	v_fma_f64 v[74:75], v[186:187], s[16:17], v[72:73]
	s_delay_alu instid0(VALU_DEP_1) | instskip(SKIP_1) | instid1(VALU_DEP_1)
	v_add_f64 v[74:75], v[74:75], v[14:15]
	v_fma_f64 v[14:15], v[194:195], s[12:13], -v[76:77]
	v_add_f64 v[14:15], v[14:15], v[12:13]
	v_fma_f64 v[12:13], v[192:193], s[12:13], v[78:79]
	s_delay_alu instid0(VALU_DEP_1)
	v_add_f64 v[12:13], v[12:13], v[74:75]
	s_waitcnt vmcnt(0)
	v_add_f64 v[74:75], v[62:63], v[56:57]
	s_clause 0x1
	scratch_load_b64 v[56:57], off, off offset:312
	scratch_load_b64 v[62:63], off, off offset:400
	s_waitcnt vmcnt(0)
	v_add_f64 v[80:81], v[62:63], v[56:57]
	scratch_load_b64 v[56:57], off, off offset:360 ; 8-byte Folded Reload
	s_waitcnt vmcnt(0)
	v_add_f64 v[74:75], v[74:75], v[56:57]
	scratch_load_b64 v[56:57], off, off offset:376 ; 8-byte Folded Reload
	;; [unrolled: 3-line block ×3, first 2 shown]
	v_add_f64 v[80:81], v[80:81], v[58:59]
	s_waitcnt vmcnt(0)
	v_add_f64 v[74:75], v[74:75], v[56:57]
	scratch_load_b64 v[56:57], off, off offset:296 ; 8-byte Folded Reload
	v_add_f64 v[58:59], v[74:75], v[164:165]
	v_add_f64 v[74:75], v[80:81], v[166:167]
	s_delay_alu instid0(VALU_DEP_1) | instskip(NEXT) | instid1(VALU_DEP_1)
	v_add_f64 v[48:49], v[74:75], v[48:49]
	v_add_f64 v[48:49], v[48:49], v[70:71]
	s_delay_alu instid0(VALU_DEP_1)
	v_add_f64 v[48:49], v[48:49], v[229:230]
	s_waitcnt vmcnt(0)
	v_add_f64 v[58:59], v[58:59], v[56:57]
	scratch_load_b64 v[56:57], off, off offset:352 ; 8-byte Folded Reload
	v_add_f64 v[50:51], v[58:59], v[50:51]
	v_fma_f64 v[58:59], v[174:175], s[2:3], -v[64:65]
	s_delay_alu instid0(VALU_DEP_2) | instskip(SKIP_1) | instid1(VALU_DEP_1)
	v_add_f64 v[50:51], v[50:51], v[84:85]
	s_waitcnt vmcnt(0)
	v_add_f64 v[50:51], v[50:51], v[56:57]
	scratch_load_b64 v[56:57], off, off offset:368 ; 8-byte Folded Reload
	s_waitcnt vmcnt(0)
	v_add_f64 v[48:49], v[48:49], v[56:57]
	scratch_load_b64 v[56:57], off, off offset:240 ; 8-byte Folded Reload
	;; [unrolled: 3-line block ×9, first 2 shown]
	v_add_f64 v[16:17], v[52:53], v[16:17]
	v_fma_f64 v[52:53], v[190:191], s[16:17], v[66:67]
	s_waitcnt vmcnt(0)
	v_add_f64 v[34:35], v[34:35], v[56:57]
	v_fma_f64 v[56:57], v[182:183], s[2:3], v[60:61]
	s_delay_alu instid0(VALU_DEP_2) | instskip(NEXT) | instid1(VALU_DEP_2)
	v_add_f64 v[34:35], v[54:55], v[34:35]
	v_add_f64 v[16:17], v[56:57], v[16:17]
	v_fma_f64 v[54:55], v[186:187], s[16:17], -v[72:73]
	v_fma_f64 v[56:57], v[194:195], s[12:13], v[76:77]
	s_delay_alu instid0(VALU_DEP_4) | instskip(NEXT) | instid1(VALU_DEP_4)
	v_add_f64 v[34:35], v[58:59], v[34:35]
	v_add_f64 v[16:17], v[52:53], v[16:17]
	v_fma_f64 v[58:59], v[192:193], s[12:13], -v[78:79]
	s_delay_alu instid0(VALU_DEP_3) | instskip(NEXT) | instid1(VALU_DEP_3)
	v_add_f64 v[34:35], v[54:55], v[34:35]
	v_add_f64 v[54:55], v[56:57], v[16:17]
	s_clause 0x1
	scratch_load_b32 v16, off, off offset:188
	scratch_load_b32 v17, off, off offset:184
	v_add_f64 v[52:53], v[58:59], v[34:35]
	s_waitcnt vmcnt(1)
	v_mul_u32_u24_e32 v16, 39, v16
	s_waitcnt vmcnt(0)
	s_delay_alu instid0(VALU_DEP_1)
	v_add_lshl_u32 v16, v16, v17, 4
	ds_store_b128 v16, v[26:29] offset:96
	ds_store_b128 v16, v[30:33] offset:144
	;; [unrolled: 1-line block ×11, first 2 shown]
	ds_store_b128 v16, v[48:51]
	ds_store_b128 v16, v[52:55] offset:576
.LBB0_25:
	s_or_b32 exec_lo, exec_lo, s1
	s_waitcnt lgkmcnt(0)
	s_waitcnt_vscnt null, 0x0
	s_barrier
	buffer_gl0_inv
	ds_load_b128 v[56:59], v255
	ds_load_b128 v[48:51], v255 offset:1872
	ds_load_b128 v[72:75], v255 offset:13728
	;; [unrolled: 1-line block ×8, first 2 shown]
	s_and_saveexec_b32 s0, vcc_lo
	s_cbranch_execz .LBB0_27
; %bb.26:
	ds_load_b128 v[44:47], v255 offset:5616
	ds_load_b128 v[40:43], v255 offset:12480
	;; [unrolled: 1-line block ×3, first 2 shown]
.LBB0_27:
	s_or_b32 exec_lo, exec_lo, s0
	s_waitcnt lgkmcnt(4)
	v_mul_f64 v[0:1], v[114:115], v[90:91]
	v_mul_f64 v[2:3], v[110:111], v[74:75]
	;; [unrolled: 1-line block ×4, first 2 shown]
	s_waitcnt lgkmcnt(2)
	v_mul_f64 v[8:9], v[122:123], v[86:87]
	v_mul_f64 v[10:11], v[118:119], v[62:63]
	;; [unrolled: 1-line block ×4, first 2 shown]
	s_waitcnt lgkmcnt(1)
	v_mul_f64 v[16:17], v[106:107], v[66:67]
	s_waitcnt lgkmcnt(0)
	v_mul_f64 v[18:19], v[102:103], v[70:71]
	v_mul_f64 v[20:21], v[106:107], v[64:65]
	v_mul_f64 v[22:23], v[102:103], v[68:69]
	s_mov_b32 s0, 0xe8584caa
	s_mov_b32 s1, 0xbfebb67a
	;; [unrolled: 1-line block ×4, first 2 shown]
	s_barrier
	buffer_gl0_inv
	v_fma_f64 v[0:1], v[112:113], v[88:89], v[0:1]
	v_fma_f64 v[2:3], v[108:109], v[72:73], v[2:3]
	v_fma_f64 v[4:5], v[112:113], v[90:91], -v[4:5]
	v_fma_f64 v[6:7], v[108:109], v[74:75], -v[6:7]
	v_fma_f64 v[8:9], v[120:121], v[84:85], v[8:9]
	v_fma_f64 v[10:11], v[116:117], v[60:61], v[10:11]
	v_fma_f64 v[12:13], v[120:121], v[86:87], -v[12:13]
	v_fma_f64 v[14:15], v[116:117], v[62:63], -v[14:15]
	;; [unrolled: 4-line block ×3, first 2 shown]
	v_add_f64 v[60:61], v[56:57], v[0:1]
	v_add_f64 v[24:25], v[0:1], v[2:3]
	v_add_f64 v[26:27], v[4:5], v[6:7]
	v_add_f64 v[62:63], v[4:5], -v[6:7]
	v_add_f64 v[28:29], v[8:9], v[10:11]
	v_add_f64 v[4:5], v[58:59], v[4:5]
	;; [unrolled: 1-line block ×9, first 2 shown]
	v_fma_f64 v[24:25], v[24:25], -0.5, v[56:57]
	v_add_f64 v[56:57], v[0:1], -v[2:3]
	v_fma_f64 v[26:27], v[26:27], -0.5, v[58:59]
	v_add_f64 v[58:59], v[12:13], -v[14:15]
	;; [unrolled: 2-line block ×5, first 2 shown]
	v_add_f64 v[0:1], v[60:61], v[2:3]
	v_add_f64 v[2:3], v[4:5], v[6:7]
	;; [unrolled: 1-line block ×6, first 2 shown]
	v_fma_f64 v[34:35], v[34:35], -0.5, v[54:55]
	v_fma_f64 v[12:13], v[62:63], s[0:1], v[24:25]
	v_fma_f64 v[16:17], v[62:63], s[2:3], v[24:25]
	;; [unrolled: 1-line block ×8, first 2 shown]
	scratch_load_b32 v48, off, off offset:288 ; 4-byte Folded Reload
	v_fma_f64 v[28:29], v[50:51], s[0:1], v[32:33]
	v_fma_f64 v[32:33], v[50:51], s[2:3], v[32:33]
	s_waitcnt vmcnt(0)
	ds_store_b128 v48, v[0:3]
	ds_store_b128 v48, v[12:15] offset:624
	ds_store_b128 v48, v[16:19] offset:1248
	scratch_load_b32 v0, off, off offset:280 ; 4-byte Folded Reload
	v_fma_f64 v[30:31], v[52:53], s[2:3], v[34:35]
	v_fma_f64 v[34:35], v[52:53], s[0:1], v[34:35]
	s_waitcnt vmcnt(0)
	ds_store_b128 v0, v[4:7]
	ds_store_b128 v0, v[20:23] offset:624
	ds_store_b128 v0, v[24:27] offset:1248
	scratch_load_b32 v0, off, off offset:272 ; 4-byte Folded Reload
	s_waitcnt vmcnt(0)
	ds_store_b128 v0, v[8:11]
	ds_store_b128 v0, v[28:31] offset:624
	ds_store_b128 v0, v[32:35] offset:1248
	s_and_saveexec_b32 s10, vcc_lo
	s_cbranch_execz .LBB0_29
; %bb.28:
	s_clause 0x1
	scratch_load_b128 v[12:15], off, off offset:336
	scratch_load_b128 v[8:11], off, off offset:320
	s_waitcnt vmcnt(1)
	v_mul_f64 v[0:1], v[14:15], v[40:41]
	s_waitcnt vmcnt(0)
	v_mul_f64 v[2:3], v[10:11], v[36:37]
	v_mul_f64 v[4:5], v[14:15], v[42:43]
	v_mul_f64 v[6:7], v[10:11], v[38:39]
	s_delay_alu instid0(VALU_DEP_4) | instskip(NEXT) | instid1(VALU_DEP_4)
	v_fma_f64 v[0:1], v[12:13], v[42:43], -v[0:1]
	v_fma_f64 v[2:3], v[8:9], v[38:39], -v[2:3]
	s_delay_alu instid0(VALU_DEP_4) | instskip(NEXT) | instid1(VALU_DEP_4)
	v_fma_f64 v[4:5], v[12:13], v[40:41], v[4:5]
	v_fma_f64 v[6:7], v[8:9], v[36:37], v[6:7]
	s_delay_alu instid0(VALU_DEP_4) | instskip(NEXT) | instid1(VALU_DEP_4)
	v_add_f64 v[14:15], v[46:47], v[0:1]
	v_add_f64 v[8:9], v[0:1], v[2:3]
	v_add_f64 v[16:17], v[0:1], -v[2:3]
	s_delay_alu instid0(VALU_DEP_4)
	v_add_f64 v[10:11], v[4:5], v[6:7]
	v_add_f64 v[12:13], v[4:5], -v[6:7]
	v_add_f64 v[4:5], v[44:45], v[4:5]
	v_add_f64 v[2:3], v[14:15], v[2:3]
	v_fma_f64 v[8:9], v[8:9], -0.5, v[46:47]
	v_fma_f64 v[18:19], v[10:11], -0.5, v[44:45]
	s_delay_alu instid0(VALU_DEP_4) | instskip(NEXT) | instid1(VALU_DEP_3)
	v_add_f64 v[0:1], v[4:5], v[6:7]
	v_fma_f64 v[6:7], v[12:13], s[0:1], v[8:9]
	v_fma_f64 v[10:11], v[12:13], s[2:3], v[8:9]
	scratch_load_b32 v12, off, off offset:264 ; 4-byte Folded Reload
	v_fma_f64 v[8:9], v[16:17], s[0:1], v[18:19]
	v_fma_f64 v[4:5], v[16:17], s[2:3], v[18:19]
	s_waitcnt vmcnt(0)
	v_and_b32_e32 v12, 0xffff, v12
	s_delay_alu instid0(VALU_DEP_1)
	v_lshlrev_b32_e32 v12, 4, v12
	ds_store_b128 v12, v[0:3]
	ds_store_b128 v12, v[8:11] offset:624
	ds_store_b128 v12, v[4:7] offset:1248
.LBB0_29:
	s_or_b32 exec_lo, exec_lo, s10
	s_waitcnt lgkmcnt(0)
	s_barrier
	buffer_gl0_inv
	ds_load_b128 v[0:3], v255 offset:1872
	ds_load_b128 v[4:7], v255 offset:18720
	;; [unrolled: 1-line block ×10, first 2 shown]
	s_mov_b32 s0, 0xf8bb580b
	s_mov_b32 s2, 0x8764f0ba
	;; [unrolled: 1-line block ×14, first 2 shown]
	s_waitcnt lgkmcnt(8)
	v_mul_f64 v[44:45], v[154:155], v[4:5]
	s_waitcnt lgkmcnt(7)
	v_mul_f64 v[46:47], v[126:127], v[8:9]
	v_mul_f64 v[36:37], v[130:131], v[2:3]
	;; [unrolled: 1-line block ×3, first 2 shown]
	s_waitcnt lgkmcnt(6)
	v_mul_f64 v[48:49], v[150:151], v[12:13]
	v_mul_f64 v[50:51], v[126:127], v[10:11]
	s_waitcnt lgkmcnt(5)
	v_mul_f64 v[56:57], v[94:95], v[16:17]
	s_waitcnt lgkmcnt(4)
	v_mul_f64 v[58:59], v[146:147], v[20:21]
	v_mul_f64 v[62:63], v[94:95], v[18:19]
	;; [unrolled: 1-line block ×4, first 2 shown]
	s_waitcnt lgkmcnt(1)
	v_mul_f64 v[72:73], v[142:143], v[34:35]
	v_mul_f64 v[60:61], v[154:155], v[6:7]
	;; [unrolled: 1-line block ×7, first 2 shown]
	s_mov_b32 s25, 0xbfe82f19
	s_mov_b32 s27, 0xbfe4f49e
	;; [unrolled: 1-line block ×16, first 2 shown]
	v_fma_f64 v[52:53], v[128:129], v[0:1], v[36:37]
	v_fma_f64 v[54:55], v[128:129], v[2:3], -v[38:39]
	ds_load_b128 v[36:39], v255
	s_waitcnt lgkmcnt(1)
	v_mul_f64 v[82:83], v[134:135], v[40:41]
	v_fma_f64 v[0:1], v[152:153], v[6:7], -v[44:45]
	v_fma_f64 v[44:45], v[124:125], v[10:11], -v[46:47]
	;; [unrolled: 1-line block ×3, first 2 shown]
	v_fma_f64 v[14:15], v[124:125], v[8:9], v[50:51]
	v_mul_f64 v[80:81], v[134:135], v[42:43]
	v_fma_f64 v[18:19], v[92:93], v[18:19], -v[56:57]
	v_fma_f64 v[8:9], v[144:145], v[22:23], -v[58:59]
	v_fma_f64 v[16:17], v[92:93], v[16:17], v[62:63]
	v_fma_f64 v[10:11], v[144:145], v[20:21], v[68:69]
	;; [unrolled: 1-line block ×6, first 2 shown]
	v_fma_f64 v[20:21], v[96:97], v[26:27], -v[70:71]
	v_fma_f64 v[24:25], v[140:141], v[34:35], -v[74:75]
	v_fma_f64 v[26:27], v[136:137], v[28:29], v[76:77]
	v_fma_f64 v[28:29], v[136:137], v[30:31], -v[78:79]
	s_waitcnt lgkmcnt(0)
	v_add_f64 v[46:47], v[36:37], v[52:53]
	v_add_f64 v[48:49], v[38:39], v[54:55]
	v_fma_f64 v[32:33], v[132:133], v[42:43], -v[82:83]
	v_add_f64 v[34:35], v[54:55], -v[0:1]
	v_add_f64 v[42:43], v[44:45], -v[2:3]
	v_add_f64 v[50:51], v[44:45], v[2:3]
	v_fma_f64 v[30:31], v[132:133], v[40:41], v[80:81]
	v_add_f64 v[40:41], v[54:55], v[0:1]
	v_add_f64 v[54:55], v[18:19], v[8:9]
	;; [unrolled: 1-line block ×3, first 2 shown]
	v_add_f64 v[62:63], v[16:17], -v[10:11]
	v_add_f64 v[56:57], v[52:53], v[4:5]
	v_add_f64 v[52:53], v[52:53], -v[4:5]
	v_add_f64 v[64:65], v[12:13], v[22:23]
	;; [unrolled: 2-line block ×3, first 2 shown]
	v_add_f64 v[66:67], v[20:21], v[24:25]
	v_add_f64 v[68:69], v[20:21], -v[24:25]
	v_add_f64 v[46:47], v[46:47], v[14:15]
	v_add_f64 v[44:45], v[48:49], v[44:45]
	v_add_f64 v[48:49], v[18:19], -v[8:9]
	v_add_f64 v[74:75], v[28:29], v[32:33]
	v_mul_f64 v[80:81], v[34:35], s[0:1]
	v_mul_f64 v[84:85], v[34:35], s[12:13]
	;; [unrolled: 1-line block ×10, first 2 shown]
	v_add_f64 v[14:15], v[14:15], -v[6:7]
	v_mul_f64 v[96:97], v[42:43], s[12:13]
	v_mul_f64 v[98:99], v[50:51], s[14:15]
	;; [unrolled: 1-line block ×10, first 2 shown]
	v_add_f64 v[72:73], v[26:27], v[30:31]
	v_add_f64 v[76:77], v[26:27], -v[30:31]
	v_add_f64 v[78:79], v[28:29], -v[32:33]
	v_mul_f64 v[54:55], v[54:55], s[26:27]
	v_mul_f64 v[124:125], v[68:69], s[24:25]
	;; [unrolled: 1-line block ×10, first 2 shown]
	v_add_f64 v[16:17], v[46:47], v[16:17]
	v_add_f64 v[18:19], v[44:45], v[18:19]
	v_mul_f64 v[44:45], v[50:51], s[26:27]
	v_mul_f64 v[142:143], v[74:75], s[34:35]
	;; [unrolled: 1-line block ×5, first 2 shown]
	v_fma_f64 v[156:157], v[56:57], s[14:15], v[84:85]
	v_mul_f64 v[46:47], v[42:43], s[36:37]
	v_fma_f64 v[84:85], v[56:57], s[14:15], -v[84:85]
	v_fma_f64 v[158:159], v[52:53], s[16:17], v[86:87]
	v_fma_f64 v[160:161], v[56:57], s[20:21], v[88:89]
	;; [unrolled: 1-line block ×3, first 2 shown]
	v_fma_f64 v[88:89], v[56:57], s[20:21], -v[88:89]
	v_fma_f64 v[164:165], v[56:57], s[26:27], v[92:93]
	v_fma_f64 v[166:167], v[52:53], s[28:29], v[94:95]
	v_mul_f64 v[42:43], v[42:43], s[10:11]
	v_mul_f64 v[50:51], v[50:51], s[2:3]
	v_fma_f64 v[92:93], v[56:57], s[26:27], -v[92:93]
	v_fma_f64 v[168:169], v[56:57], s[34:35], v[34:35]
	v_fma_f64 v[170:171], v[52:53], s[36:37], v[40:41]
	v_fma_f64 v[34:35], v[56:57], s[34:35], -v[34:35]
	v_fma_f64 v[40:41], v[52:53], s[30:31], v[40:41]
	v_fma_f64 v[94:95], v[52:53], s[24:25], v[94:95]
	;; [unrolled: 1-line block ×4, first 2 shown]
	v_mul_f64 v[108:109], v[48:49], s[18:19]
	v_mul_f64 v[112:113], v[48:49], s[36:37]
	v_fma_f64 v[172:173], v[58:59], s[26:27], v[100:101]
	v_mul_f64 v[116:117], v[48:49], s[16:17]
	v_fma_f64 v[100:101], v[58:59], s[26:27], -v[100:101]
	v_fma_f64 v[178:179], v[14:15], s[30:31], v[102:103]
	v_mul_f64 v[120:121], v[48:49], s[0:1]
	v_fma_f64 v[180:181], v[58:59], s[20:21], v[104:105]
	v_fma_f64 v[182:183], v[14:15], s[18:19], v[106:107]
	v_mul_f64 v[48:49], v[48:49], s[24:25]
	v_fma_f64 v[104:105], v[58:59], s[20:21], -v[104:105]
	v_fma_f64 v[102:103], v[14:15], s[36:37], v[102:103]
	v_add_f64 v[12:13], v[16:17], v[12:13]
	v_add_f64 v[16:17], v[18:19], v[20:21]
	v_mul_f64 v[18:19], v[74:75], s[20:21]
	v_fma_f64 v[20:21], v[56:57], s[2:3], v[80:81]
	v_fma_f64 v[74:75], v[52:53], s[10:11], v[82:83]
	v_fma_f64 v[80:81], v[56:57], s[2:3], -v[80:81]
	v_fma_f64 v[82:83], v[52:53], s[0:1], v[82:83]
	v_fma_f64 v[52:53], v[58:59], s[14:15], v[96:97]
	;; [unrolled: 1-line block ×3, first 2 shown]
	v_fma_f64 v[96:97], v[58:59], s[14:15], -v[96:97]
	v_fma_f64 v[98:99], v[14:15], s[12:13], v[98:99]
	v_fma_f64 v[174:175], v[14:15], s[28:29], v[44:45]
	v_add_f64 v[156:157], v[36:37], v[156:157]
	v_add_f64 v[158:159], v[38:39], v[158:159]
	v_fma_f64 v[176:177], v[58:59], s[34:35], v[46:47]
	v_add_f64 v[84:85], v[36:37], v[84:85]
	v_add_f64 v[160:161], v[36:37], v[160:161]
	v_add_f64 v[162:163], v[38:39], v[162:163]
	v_fma_f64 v[46:47], v[58:59], s[34:35], -v[46:47]
	v_add_f64 v[88:89], v[36:37], v[88:89]
	v_add_f64 v[164:165], v[36:37], v[164:165]
	;; [unrolled: 1-line block ×6, first 2 shown]
	v_fma_f64 v[44:45], v[14:15], s[24:25], v[44:45]
	v_add_f64 v[34:35], v[36:37], v[34:35]
	v_add_f64 v[90:91], v[38:39], v[90:91]
	;; [unrolled: 1-line block ×3, first 2 shown]
	v_fma_f64 v[184:185], v[60:61], s[34:35], v[112:113]
	v_fma_f64 v[186:187], v[62:63], s[30:31], v[114:115]
	v_fma_f64 v[188:189], v[60:61], s[14:15], v[116:117]
	v_fma_f64 v[190:191], v[62:63], s[12:13], v[118:119]
	v_mul_f64 v[66:67], v[66:67], s[14:15]
	v_fma_f64 v[116:117], v[60:61], s[14:15], -v[116:117]
	v_fma_f64 v[118:119], v[62:63], s[16:17], v[118:119]
	v_fma_f64 v[112:113], v[60:61], s[34:35], -v[112:113]
	v_fma_f64 v[114:115], v[62:63], s[36:37], v[114:115]
	v_add_f64 v[12:13], v[12:13], v[26:27]
	v_add_f64 v[16:17], v[16:17], v[28:29]
	v_fma_f64 v[26:27], v[14:15], s[22:23], v[106:107]
	v_add_f64 v[20:21], v[36:37], v[20:21]
	v_fma_f64 v[28:29], v[58:59], s[2:3], v[42:43]
	v_add_f64 v[80:81], v[36:37], v[80:81]
	v_add_f64 v[82:83], v[38:39], v[82:83]
	v_fma_f64 v[106:107], v[14:15], s[0:1], v[50:51]
	v_fma_f64 v[42:43], v[58:59], s[2:3], -v[42:43]
	v_fma_f64 v[14:15], v[14:15], s[10:11], v[50:51]
	v_add_f64 v[36:37], v[38:39], v[40:41]
	v_add_f64 v[40:41], v[38:39], v[94:95]
	v_fma_f64 v[50:51], v[60:61], s[20:21], v[108:109]
	v_fma_f64 v[58:59], v[62:63], s[22:23], v[110:111]
	v_fma_f64 v[108:109], v[60:61], s[20:21], -v[108:109]
	v_fma_f64 v[110:111], v[62:63], s[18:19], v[110:111]
	v_add_f64 v[84:85], v[100:101], v[84:85]
	v_add_f64 v[100:101], v[178:179], v[162:163]
	v_fma_f64 v[94:95], v[62:63], s[0:1], v[122:123]
	v_add_f64 v[46:47], v[46:47], v[88:89]
	v_add_f64 v[88:89], v[180:181], v[164:165]
	v_mul_f64 v[144:145], v[78:79], s[10:11]
	v_add_f64 v[92:93], v[104:105], v[92:93]
	v_fma_f64 v[192:193], v[64:65], s[20:21], v[128:129]
	v_fma_f64 v[194:195], v[70:71], s[18:19], v[130:131]
	v_mul_f64 v[140:141], v[78:79], s[30:31]
	v_mul_f64 v[148:149], v[78:79], s[24:25]
	;; [unrolled: 1-line block ×4, first 2 shown]
	v_fma_f64 v[128:129], v[64:65], s[20:21], -v[128:129]
	v_fma_f64 v[130:131], v[70:71], s[22:23], v[130:131]
	v_add_f64 v[12:13], v[12:13], v[30:31]
	v_add_f64 v[16:17], v[16:17], v[32:33]
	;; [unrolled: 1-line block ×4, first 2 shown]
	v_fma_f64 v[32:33], v[60:61], s[2:3], v[120:121]
	v_add_f64 v[52:53], v[96:97], v[80:81]
	v_add_f64 v[80:81], v[98:99], v[82:83]
	;; [unrolled: 1-line block ×5, first 2 shown]
	v_fma_f64 v[38:39], v[62:63], s[10:11], v[122:123]
	v_add_f64 v[156:157], v[182:183], v[166:167]
	v_fma_f64 v[74:75], v[60:61], s[2:3], -v[120:121]
	v_fma_f64 v[120:121], v[60:61], s[26:27], v[48:49]
	v_fma_f64 v[122:123], v[62:63], s[28:29], v[54:55]
	v_add_f64 v[28:29], v[28:29], v[168:169]
	v_add_f64 v[104:105], v[106:107], v[170:171]
	v_fma_f64 v[48:49], v[60:61], s[26:27], -v[48:49]
	v_fma_f64 v[54:55], v[62:63], s[24:25], v[54:55]
	v_add_f64 v[34:35], v[42:43], v[34:35]
	v_add_f64 v[14:15], v[14:15], v[36:37]
	;; [unrolled: 1-line block ×5, first 2 shown]
	v_fma_f64 v[60:61], v[64:65], s[26:27], v[124:125]
	v_fma_f64 v[62:63], v[70:71], s[28:29], v[126:127]
	v_fma_f64 v[124:125], v[64:65], s[26:27], -v[124:125]
	v_fma_f64 v[126:127], v[70:71], s[24:25], v[126:127]
	v_fma_f64 v[86:87], v[70:71], s[36:37], v[138:139]
	v_fma_f64 v[42:43], v[64:65], s[2:3], -v[132:133]
	v_fma_f64 v[90:91], v[64:65], s[34:35], -v[136:137]
	v_fma_f64 v[106:107], v[64:65], s[14:15], v[68:69]
	v_add_f64 v[46:47], v[116:117], v[46:47]
	v_fma_f64 v[102:103], v[70:71], s[30:31], v[138:139]
	v_fma_f64 v[44:45], v[70:71], s[0:1], v[134:135]
	v_add_f64 v[84:85], v[112:113], v[84:85]
	v_fma_f64 v[112:113], v[76:77], s[16:17], v[154:155]
	v_fma_f64 v[116:117], v[76:77], s[22:23], v[18:19]
	v_add_f64 v[12:13], v[12:13], v[22:23]
	v_add_f64 v[16:17], v[16:17], v[24:25]
	v_add_f64 v[22:23], v[56:57], v[30:31]
	v_add_f64 v[20:21], v[50:51], v[20:21]
	v_fma_f64 v[24:25], v[64:65], s[2:3], v[132:133]
	v_add_f64 v[50:51], v[108:109], v[52:53]
	v_add_f64 v[52:53], v[110:111], v[80:81]
	;; [unrolled: 1-line block ×4, first 2 shown]
	v_fma_f64 v[30:31], v[70:71], s[10:11], v[134:135]
	v_add_f64 v[96:97], v[188:189], v[98:99]
	v_add_f64 v[98:99], v[190:191], v[100:101]
	v_fma_f64 v[56:57], v[64:65], s[34:35], v[136:137]
	v_add_f64 v[32:33], v[32:33], v[88:89]
	v_add_f64 v[38:39], v[38:39], v[156:157]
	;; [unrolled: 3-line block ×3, first 2 shown]
	v_add_f64 v[88:89], v[122:123], v[104:105]
	v_fma_f64 v[64:65], v[64:65], s[14:15], -v[68:69]
	v_fma_f64 v[66:67], v[70:71], s[16:17], v[66:67]
	v_add_f64 v[34:35], v[48:49], v[34:35]
	v_add_f64 v[14:15], v[54:55], v[14:15]
	;; [unrolled: 1-line block ×5, first 2 shown]
	v_fma_f64 v[70:71], v[76:77], s[36:37], v[142:143]
	v_fma_f64 v[136:137], v[76:77], s[30:31], v[142:143]
	;; [unrolled: 1-line block ×7, first 2 shown]
	v_fma_f64 v[134:135], v[72:73], s[34:35], -v[140:141]
	v_fma_f64 v[104:105], v[72:73], s[14:15], v[152:153]
	v_fma_f64 v[114:115], v[72:73], s[20:21], v[78:79]
	v_add_f64 v[42:43], v[42:43], v[46:47]
	v_fma_f64 v[48:49], v[72:73], s[2:3], -v[144:145]
	v_add_f64 v[10:11], v[12:13], v[10:11]
	v_add_f64 v[8:9], v[16:17], v[8:9]
	;; [unrolled: 1-line block ×3, first 2 shown]
	v_fma_f64 v[16:17], v[72:73], s[2:3], v[144:145]
	v_fma_f64 v[22:23], v[76:77], s[0:1], v[146:147]
	;; [unrolled: 1-line block ×3, first 2 shown]
	v_add_f64 v[18:19], v[60:61], v[20:21]
	v_add_f64 v[20:21], v[124:125], v[50:51]
	;; [unrolled: 1-line block ×5, first 2 shown]
	v_fma_f64 v[58:59], v[72:73], s[26:27], v[148:149]
	v_add_f64 v[24:25], v[24:25], v[96:97]
	v_add_f64 v[30:31], v[30:31], v[98:99]
	;; [unrolled: 1-line block ×7, first 2 shown]
	v_fma_f64 v[94:95], v[72:73], s[26:27], -v[148:149]
	v_fma_f64 v[110:111], v[72:73], s[14:15], -v[152:153]
	;; [unrolled: 1-line block ×3, first 2 shown]
	v_add_f64 v[64:65], v[64:65], v[34:35]
	v_add_f64 v[66:67], v[66:67], v[14:15]
	;; [unrolled: 1-line block ×6, first 2 shown]
	s_mul_i32 s0, s5, 0x1ad
	s_mul_hi_u32 s1, s4, 0x1ad
	s_mul_i32 s11, s5, 0xfffffd1b
	s_mul_i32 s10, s4, 0xfffffd1b
	s_mov_b32 s2, 0x768d3a48
	s_mov_b32 s3, 0x3f4975f4
	v_add_f64 v[84:85], v[10:11], v[6:7]
	v_add_f64 v[86:87], v[8:9], v[2:3]
	;; [unrolled: 1-line block ×25, first 2 shown]
	ds_store_b128 v255, v[10:13] offset:3744
	ds_store_b128 v255, v[18:21] offset:5616
	;; [unrolled: 1-line block ×9, first 2 shown]
	ds_store_b128 v255, v[42:45]
	ds_store_b128 v255, v[2:5] offset:1872
	s_waitcnt lgkmcnt(0)
	s_barrier
	buffer_gl0_inv
	ds_load_b128 v[0:3], v255
	ds_load_b128 v[4:7], v255 offset:6864
	ds_load_b128 v[8:11], v255 offset:13728
	ds_load_b128 v[12:15], v255 offset:1872
	ds_load_b128 v[16:19], v255 offset:8736
	ds_load_b128 v[20:23], v255 offset:15600
	ds_load_b128 v[24:27], v255 offset:3744
	ds_load_b128 v[28:31], v255 offset:10608
	ds_load_b128 v[32:35], v255 offset:17472
	s_clause 0x5
	scratch_load_b128 v[80:83], off, off offset:16
	scratch_load_b128 v[88:91], off, off offset:88
	;; [unrolled: 1-line block ×4, first 2 shown]
	scratch_load_b64 v[36:37], off, off
	scratch_load_b32 v79, off, off offset:8
	s_waitcnt vmcnt(5) lgkmcnt(8)
	v_mul_f64 v[40:41], v[82:83], v[2:3]
	v_mul_f64 v[42:43], v[82:83], v[0:1]
	scratch_load_b128 v[82:85], off, off offset:40 ; 16-byte Folded Reload
	s_waitcnt vmcnt(3) lgkmcnt(6)
	v_mul_f64 v[48:49], v[94:95], v[10:11]
	v_mul_f64 v[50:51], v[94:95], v[8:9]
	s_waitcnt lgkmcnt(4)
	v_mul_f64 v[56:57], v[90:91], v[18:19]
	v_mul_f64 v[58:59], v[90:91], v[16:17]
	s_waitcnt vmcnt(2)
	v_mov_b32_e32 v78, v36
	s_waitcnt vmcnt(1)
	v_mad_u64_u32 v[38:39], null, s4, v79, 0
	s_delay_alu instid0(VALU_DEP_2) | instskip(SKIP_1) | instid1(VALU_DEP_1)
	v_mad_u64_u32 v[36:37], null, s6, v78, 0
	s_mul_i32 s6, s4, 0x1ad
	v_mad_u64_u32 v[76:77], null, s7, v78, v[37:38]
	s_add_i32 s7, s1, s0
	s_delay_alu instid0(VALU_DEP_1) | instskip(NEXT) | instid1(VALU_DEP_1)
	v_mov_b32_e32 v37, v76
	v_lshlrev_b64 v[36:37], 4, v[36:37]
	v_mad_u64_u32 v[77:78], null, s5, v79, v[39:40]
	v_fma_f64 v[0:1], v[80:81], v[0:1], v[40:41]
	v_fma_f64 v[40:41], v[80:81], v[2:3], -v[42:43]
	s_mul_hi_u32 s5, s4, 0xfffffd1b
	s_delay_alu instid0(SALU_CYCLE_1) | instskip(SKIP_1) | instid1(VALU_DEP_3)
	s_sub_i32 s1, s5, s4
	s_lshl_b64 s[4:5], s[6:7], 4
	v_mov_b32_e32 v39, v77
	s_add_i32 s11, s1, s11
	s_delay_alu instid0(SALU_CYCLE_1) | instskip(NEXT) | instid1(VALU_DEP_1)
	s_lshl_b64 s[6:7], s[10:11], 4
	v_lshlrev_b64 v[2:3], 4, v[38:39]
	s_waitcnt vmcnt(0)
	v_mul_f64 v[52:53], v[84:85], v[14:15]
	v_mul_f64 v[54:55], v[84:85], v[12:13]
	scratch_load_b128 v[84:87], off, off offset:72 ; 16-byte Folded Reload
	v_mul_f64 v[44:45], v[98:99], v[6:7]
	v_mul_f64 v[46:47], v[98:99], v[4:5]
	scratch_load_b128 v[98:101], off, off offset:136 ; 16-byte Folded Reload
	v_fma_f64 v[42:43], v[96:97], v[4:5], v[44:45]
	v_fma_f64 v[44:45], v[96:97], v[6:7], -v[46:47]
	v_fma_f64 v[46:47], v[92:93], v[8:9], v[48:49]
	v_fma_f64 v[48:49], v[92:93], v[10:11], -v[50:51]
	;; [unrolled: 2-line block ×4, first 2 shown]
	v_add_co_u32 v4, s0, s8, v36
	s_delay_alu instid0(VALU_DEP_1) | instskip(NEXT) | instid1(VALU_DEP_2)
	v_add_co_ci_u32_e64 v5, s0, s9, v37, s0
	v_add_co_u32 v38, s0, v4, v2
	s_delay_alu instid0(VALU_DEP_1)
	v_add_co_ci_u32_e64 v39, s0, v5, v3, s0
	v_mul_f64 v[2:3], v[0:1], s[2:3]
	v_mul_f64 v[4:5], v[40:41], s[2:3]
	;; [unrolled: 1-line block ×9, first 2 shown]
	s_waitcnt vmcnt(1) lgkmcnt(2)
	v_mul_f64 v[64:65], v[86:87], v[26:27]
	v_mul_f64 v[66:67], v[86:87], v[24:25]
	s_waitcnt vmcnt(0)
	v_mul_f64 v[60:61], v[100:101], v[22:23]
	v_mul_f64 v[62:63], v[100:101], v[20:21]
	scratch_load_b128 v[100:103], off, off offset:152 ; 16-byte Folded Reload
	v_fma_f64 v[58:59], v[98:99], v[20:21], v[60:61]
	v_fma_f64 v[60:61], v[98:99], v[22:23], -v[62:63]
	v_fma_f64 v[62:63], v[84:85], v[24:25], v[64:65]
	v_fma_f64 v[64:65], v[84:85], v[26:27], -v[66:67]
	v_mul_f64 v[20:21], v[56:57], s[2:3]
	v_mul_f64 v[22:23], v[58:59], s[2:3]
	;; [unrolled: 1-line block ×4, first 2 shown]
	s_waitcnt vmcnt(0) lgkmcnt(1)
	v_mul_f64 v[68:69], v[102:103], v[30:31]
	v_mul_f64 v[70:71], v[102:103], v[28:29]
	scratch_load_b128 v[102:105], off, off offset:168 ; 16-byte Folded Reload
	v_fma_f64 v[66:67], v[100:101], v[28:29], v[68:69]
	v_fma_f64 v[68:69], v[100:101], v[30:31], -v[70:71]
	v_mul_f64 v[28:29], v[64:65], s[2:3]
	s_delay_alu instid0(VALU_DEP_3) | instskip(SKIP_3) | instid1(VALU_DEP_2)
	v_mul_f64 v[30:31], v[66:67], s[2:3]
	s_waitcnt vmcnt(0) lgkmcnt(0)
	v_mul_f64 v[72:73], v[104:105], v[34:35]
	v_mul_f64 v[74:75], v[104:105], v[32:33]
	v_fma_f64 v[70:71], v[102:103], v[32:33], v[72:73]
	s_delay_alu instid0(VALU_DEP_2) | instskip(SKIP_1) | instid1(VALU_DEP_1)
	v_fma_f64 v[72:73], v[102:103], v[34:35], -v[74:75]
	v_add_co_u32 v74, s0, v38, s4
	v_add_co_ci_u32_e64 v75, s0, s5, v39, s0
	v_mul_f64 v[32:33], v[68:69], s[2:3]
	s_delay_alu instid0(VALU_DEP_3) | instskip(NEXT) | instid1(VALU_DEP_1)
	v_add_co_u32 v76, s0, v74, s4
	v_add_co_ci_u32_e64 v77, s0, s5, v75, s0
	s_delay_alu instid0(VALU_DEP_2) | instskip(NEXT) | instid1(VALU_DEP_1)
	v_add_co_u32 v40, s0, v76, s6
	v_add_co_ci_u32_e64 v41, s0, s7, v77, s0
	s_delay_alu instid0(VALU_DEP_2) | instskip(NEXT) | instid1(VALU_DEP_1)
	;; [unrolled: 3-line block ×5, first 2 shown]
	v_add_co_u32 v48, s0, v46, s4
	v_add_co_ci_u32_e64 v49, s0, s5, v47, s0
	s_delay_alu instid0(VALU_DEP_2) | instskip(SKIP_2) | instid1(VALU_DEP_4)
	v_add_co_u32 v0, s0, v48, s4
	v_mul_f64 v[34:35], v[70:71], s[2:3]
	v_mul_f64 v[36:37], v[72:73], s[2:3]
	v_add_co_ci_u32_e64 v1, s0, s5, v49, s0
	s_clause 0x4
	global_store_b128 v[38:39], v[2:5], off
	global_store_b128 v[74:75], v[6:9], off
	;; [unrolled: 1-line block ×9, first 2 shown]
	s_and_b32 exec_lo, exec_lo, vcc_lo
	s_cbranch_execz .LBB0_31
; %bb.30:
	scratch_load_b64 v[2:3], off, off offset:64 ; 8-byte Folded Reload
	v_add_co_u32 v0, vcc_lo, v0, s6
	v_add_co_ci_u32_e32 v1, vcc_lo, s7, v1, vcc_lo
	s_waitcnt vmcnt(0)
	global_load_b128 v[2:5], v[2:3], off offset:1520
	scratch_load_b64 v[6:7], off, off offset:32 ; 8-byte Folded Reload
	s_waitcnt vmcnt(0)
	global_load_b128 v[6:9], v[6:7], off offset:192
	scratch_load_b64 v[10:11], off, off offset:56 ; 8-byte Folded Reload
	s_waitcnt vmcnt(0)
	global_load_b128 v[10:13], v[10:11], off offset:2960
	ds_load_b128 v[14:17], v255 offset:5616
	ds_load_b128 v[18:21], v255 offset:12480
	;; [unrolled: 1-line block ×3, first 2 shown]
	s_waitcnt lgkmcnt(2)
	v_mul_f64 v[26:27], v[16:17], v[4:5]
	v_mul_f64 v[4:5], v[14:15], v[4:5]
	s_waitcnt lgkmcnt(1)
	v_mul_f64 v[28:29], v[20:21], v[8:9]
	v_mul_f64 v[8:9], v[18:19], v[8:9]
	s_delay_alu instid0(VALU_DEP_4) | instskip(NEXT) | instid1(VALU_DEP_4)
	v_fma_f64 v[14:15], v[14:15], v[2:3], v[26:27]
	v_fma_f64 v[4:5], v[2:3], v[16:17], -v[4:5]
	s_delay_alu instid0(VALU_DEP_4) | instskip(NEXT) | instid1(VALU_DEP_4)
	v_fma_f64 v[16:17], v[18:19], v[6:7], v[28:29]
	v_fma_f64 v[8:9], v[6:7], v[20:21], -v[8:9]
	s_delay_alu instid0(VALU_DEP_4) | instskip(NEXT) | instid1(VALU_DEP_4)
	v_mul_f64 v[2:3], v[14:15], s[2:3]
	v_mul_f64 v[4:5], v[4:5], s[2:3]
	s_delay_alu instid0(VALU_DEP_4) | instskip(NEXT) | instid1(VALU_DEP_4)
	v_mul_f64 v[6:7], v[16:17], s[2:3]
	v_mul_f64 v[8:9], v[8:9], s[2:3]
	v_add_co_u32 v14, vcc_lo, v0, s4
	v_add_co_ci_u32_e32 v15, vcc_lo, s5, v1, vcc_lo
	s_delay_alu instid0(VALU_DEP_2) | instskip(NEXT) | instid1(VALU_DEP_2)
	v_add_co_u32 v16, vcc_lo, v14, s4
	v_add_co_ci_u32_e32 v17, vcc_lo, s5, v15, vcc_lo
	s_waitcnt vmcnt(0) lgkmcnt(0)
	v_mul_f64 v[30:31], v[24:25], v[12:13]
	v_mul_f64 v[12:13], v[22:23], v[12:13]
	s_delay_alu instid0(VALU_DEP_2) | instskip(NEXT) | instid1(VALU_DEP_2)
	v_fma_f64 v[18:19], v[22:23], v[10:11], v[30:31]
	v_fma_f64 v[12:13], v[10:11], v[24:25], -v[12:13]
	s_delay_alu instid0(VALU_DEP_2) | instskip(NEXT) | instid1(VALU_DEP_2)
	v_mul_f64 v[10:11], v[18:19], s[2:3]
	v_mul_f64 v[12:13], v[12:13], s[2:3]
	global_store_b128 v[0:1], v[2:5], off
	global_store_b128 v[14:15], v[6:9], off
	;; [unrolled: 1-line block ×3, first 2 shown]
.LBB0_31:
	s_nop 0
	s_sendmsg sendmsg(MSG_DEALLOC_VGPRS)
	s_endpgm
	.section	.rodata,"a",@progbits
	.p2align	6, 0x0
	.amdhsa_kernel bluestein_single_fwd_len1287_dim1_dp_op_CI_CI
		.amdhsa_group_segment_fixed_size 20592
		.amdhsa_private_segment_fixed_size 436
		.amdhsa_kernarg_size 104
		.amdhsa_user_sgpr_count 15
		.amdhsa_user_sgpr_dispatch_ptr 0
		.amdhsa_user_sgpr_queue_ptr 0
		.amdhsa_user_sgpr_kernarg_segment_ptr 1
		.amdhsa_user_sgpr_dispatch_id 0
		.amdhsa_user_sgpr_private_segment_size 0
		.amdhsa_wavefront_size32 1
		.amdhsa_uses_dynamic_stack 0
		.amdhsa_enable_private_segment 1
		.amdhsa_system_sgpr_workgroup_id_x 1
		.amdhsa_system_sgpr_workgroup_id_y 0
		.amdhsa_system_sgpr_workgroup_id_z 0
		.amdhsa_system_sgpr_workgroup_info 0
		.amdhsa_system_vgpr_workitem_id 0
		.amdhsa_next_free_vgpr 256
		.amdhsa_next_free_sgpr 48
		.amdhsa_reserve_vcc 1
		.amdhsa_float_round_mode_32 0
		.amdhsa_float_round_mode_16_64 0
		.amdhsa_float_denorm_mode_32 3
		.amdhsa_float_denorm_mode_16_64 3
		.amdhsa_dx10_clamp 1
		.amdhsa_ieee_mode 1
		.amdhsa_fp16_overflow 0
		.amdhsa_workgroup_processor_mode 1
		.amdhsa_memory_ordered 1
		.amdhsa_forward_progress 0
		.amdhsa_shared_vgpr_count 0
		.amdhsa_exception_fp_ieee_invalid_op 0
		.amdhsa_exception_fp_denorm_src 0
		.amdhsa_exception_fp_ieee_div_zero 0
		.amdhsa_exception_fp_ieee_overflow 0
		.amdhsa_exception_fp_ieee_underflow 0
		.amdhsa_exception_fp_ieee_inexact 0
		.amdhsa_exception_int_div_zero 0
	.end_amdhsa_kernel
	.text
.Lfunc_end0:
	.size	bluestein_single_fwd_len1287_dim1_dp_op_CI_CI, .Lfunc_end0-bluestein_single_fwd_len1287_dim1_dp_op_CI_CI
                                        ; -- End function
	.section	.AMDGPU.csdata,"",@progbits
; Kernel info:
; codeLenInByte = 26164
; NumSgprs: 50
; NumVgprs: 256
; ScratchSize: 436
; MemoryBound: 0
; FloatMode: 240
; IeeeMode: 1
; LDSByteSize: 20592 bytes/workgroup (compile time only)
; SGPRBlocks: 6
; VGPRBlocks: 31
; NumSGPRsForWavesPerEU: 50
; NumVGPRsForWavesPerEU: 256
; Occupancy: 5
; WaveLimiterHint : 1
; COMPUTE_PGM_RSRC2:SCRATCH_EN: 1
; COMPUTE_PGM_RSRC2:USER_SGPR: 15
; COMPUTE_PGM_RSRC2:TRAP_HANDLER: 0
; COMPUTE_PGM_RSRC2:TGID_X_EN: 1
; COMPUTE_PGM_RSRC2:TGID_Y_EN: 0
; COMPUTE_PGM_RSRC2:TGID_Z_EN: 0
; COMPUTE_PGM_RSRC2:TIDIG_COMP_CNT: 0
	.text
	.p2alignl 7, 3214868480
	.fill 96, 4, 3214868480
	.type	__hip_cuid_2d5616feaa0f28df,@object ; @__hip_cuid_2d5616feaa0f28df
	.section	.bss,"aw",@nobits
	.globl	__hip_cuid_2d5616feaa0f28df
__hip_cuid_2d5616feaa0f28df:
	.byte	0                               ; 0x0
	.size	__hip_cuid_2d5616feaa0f28df, 1

	.ident	"AMD clang version 19.0.0git (https://github.com/RadeonOpenCompute/llvm-project roc-6.4.0 25133 c7fe45cf4b819c5991fe208aaa96edf142730f1d)"
	.section	".note.GNU-stack","",@progbits
	.addrsig
	.addrsig_sym __hip_cuid_2d5616feaa0f28df
	.amdgpu_metadata
---
amdhsa.kernels:
  - .args:
      - .actual_access:  read_only
        .address_space:  global
        .offset:         0
        .size:           8
        .value_kind:     global_buffer
      - .actual_access:  read_only
        .address_space:  global
        .offset:         8
        .size:           8
        .value_kind:     global_buffer
      - .actual_access:  read_only
        .address_space:  global
        .offset:         16
        .size:           8
        .value_kind:     global_buffer
      - .actual_access:  read_only
        .address_space:  global
        .offset:         24
        .size:           8
        .value_kind:     global_buffer
      - .actual_access:  read_only
        .address_space:  global
        .offset:         32
        .size:           8
        .value_kind:     global_buffer
      - .offset:         40
        .size:           8
        .value_kind:     by_value
      - .address_space:  global
        .offset:         48
        .size:           8
        .value_kind:     global_buffer
      - .address_space:  global
        .offset:         56
        .size:           8
        .value_kind:     global_buffer
      - .address_space:  global
        .offset:         64
        .size:           8
        .value_kind:     global_buffer
      - .address_space:  global
        .offset:         72
        .size:           8
        .value_kind:     global_buffer
      - .offset:         80
        .size:           4
        .value_kind:     by_value
      - .address_space:  global
        .offset:         88
        .size:           8
        .value_kind:     global_buffer
      - .address_space:  global
        .offset:         96
        .size:           8
        .value_kind:     global_buffer
    .group_segment_fixed_size: 20592
    .kernarg_segment_align: 8
    .kernarg_segment_size: 104
    .language:       OpenCL C
    .language_version:
      - 2
      - 0
    .max_flat_workgroup_size: 117
    .name:           bluestein_single_fwd_len1287_dim1_dp_op_CI_CI
    .private_segment_fixed_size: 436
    .sgpr_count:     50
    .sgpr_spill_count: 0
    .symbol:         bluestein_single_fwd_len1287_dim1_dp_op_CI_CI.kd
    .uniform_work_group_size: 1
    .uses_dynamic_stack: false
    .vgpr_count:     256
    .vgpr_spill_count: 145
    .wavefront_size: 32
    .workgroup_processor_mode: 1
amdhsa.target:   amdgcn-amd-amdhsa--gfx1100
amdhsa.version:
  - 1
  - 2
...

	.end_amdgpu_metadata
